;; amdgpu-corpus repo=ROCm/composable_kernel kind=compiled arch=gfx906 opt=O3
	.amdgcn_target "amdgcn-amd-amdhsa--gfx906"
	.amdhsa_code_object_version 6
	.section	.text._ZN2ckL12flush_icacheEv,"axG",@progbits,_ZN2ckL12flush_icacheEv,comdat
	.globl	_ZN2ckL12flush_icacheEv         ; -- Begin function _ZN2ckL12flush_icacheEv
	.p2align	8
	.type	_ZN2ckL12flush_icacheEv,@function
_ZN2ckL12flush_icacheEv:                ; @_ZN2ckL12flush_icacheEv
; %bb.0:
	;;#ASMSTART
	s_icache_inv 
	s_nop 0 
	s_nop 0 
	;; [unrolled: 1-line block ×16, first 2 shown]
	
	;;#ASMEND
	s_endpgm
	.section	.rodata,"a",@progbits
	.p2align	6, 0x0
	.amdhsa_kernel _ZN2ckL12flush_icacheEv
		.amdhsa_group_segment_fixed_size 0
		.amdhsa_private_segment_fixed_size 0
		.amdhsa_kernarg_size 0
		.amdhsa_user_sgpr_count 4
		.amdhsa_user_sgpr_private_segment_buffer 1
		.amdhsa_user_sgpr_dispatch_ptr 0
		.amdhsa_user_sgpr_queue_ptr 0
		.amdhsa_user_sgpr_kernarg_segment_ptr 0
		.amdhsa_user_sgpr_dispatch_id 0
		.amdhsa_user_sgpr_flat_scratch_init 0
		.amdhsa_user_sgpr_private_segment_size 0
		.amdhsa_uses_dynamic_stack 0
		.amdhsa_system_sgpr_private_segment_wavefront_offset 0
		.amdhsa_system_sgpr_workgroup_id_x 1
		.amdhsa_system_sgpr_workgroup_id_y 0
		.amdhsa_system_sgpr_workgroup_id_z 0
		.amdhsa_system_sgpr_workgroup_info 0
		.amdhsa_system_vgpr_workitem_id 0
		.amdhsa_next_free_vgpr 1
		.amdhsa_next_free_sgpr 0
		.amdhsa_reserve_vcc 0
		.amdhsa_reserve_flat_scratch 0
		.amdhsa_float_round_mode_32 0
		.amdhsa_float_round_mode_16_64 0
		.amdhsa_float_denorm_mode_32 3
		.amdhsa_float_denorm_mode_16_64 3
		.amdhsa_dx10_clamp 1
		.amdhsa_ieee_mode 1
		.amdhsa_fp16_overflow 0
		.amdhsa_exception_fp_ieee_invalid_op 0
		.amdhsa_exception_fp_denorm_src 0
		.amdhsa_exception_fp_ieee_div_zero 0
		.amdhsa_exception_fp_ieee_overflow 0
		.amdhsa_exception_fp_ieee_underflow 0
		.amdhsa_exception_fp_ieee_inexact 0
		.amdhsa_exception_int_div_zero 0
	.end_amdhsa_kernel
	.section	.text._ZN2ckL12flush_icacheEv,"axG",@progbits,_ZN2ckL12flush_icacheEv,comdat
.Lfunc_end0:
	.size	_ZN2ckL12flush_icacheEv, .Lfunc_end0-_ZN2ckL12flush_icacheEv
                                        ; -- End function
	.set _ZN2ckL12flush_icacheEv.num_vgpr, 0
	.set _ZN2ckL12flush_icacheEv.num_agpr, 0
	.set _ZN2ckL12flush_icacheEv.numbered_sgpr, 0
	.set _ZN2ckL12flush_icacheEv.num_named_barrier, 0
	.set _ZN2ckL12flush_icacheEv.private_seg_size, 0
	.set _ZN2ckL12flush_icacheEv.uses_vcc, 0
	.set _ZN2ckL12flush_icacheEv.uses_flat_scratch, 0
	.set _ZN2ckL12flush_icacheEv.has_dyn_sized_stack, 0
	.set _ZN2ckL12flush_icacheEv.has_recursion, 0
	.set _ZN2ckL12flush_icacheEv.has_indirect_call, 0
	.section	.AMDGPU.csdata,"",@progbits
; Kernel info:
; codeLenInByte = 140
; TotalNumSgprs: 4
; NumVgprs: 0
; ScratchSize: 0
; MemoryBound: 0
; FloatMode: 240
; IeeeMode: 1
; LDSByteSize: 0 bytes/workgroup (compile time only)
; SGPRBlocks: 0
; VGPRBlocks: 0
; NumSGPRsForWavesPerEU: 4
; NumVGPRsForWavesPerEU: 1
; Occupancy: 10
; WaveLimiterHint : 0
; COMPUTE_PGM_RSRC2:SCRATCH_EN: 0
; COMPUTE_PGM_RSRC2:USER_SGPR: 4
; COMPUTE_PGM_RSRC2:TRAP_HANDLER: 0
; COMPUTE_PGM_RSRC2:TGID_X_EN: 1
; COMPUTE_PGM_RSRC2:TGID_Y_EN: 0
; COMPUTE_PGM_RSRC2:TGID_Z_EN: 0
; COMPUTE_PGM_RSRC2:TIDIG_COMP_CNT: 0
	.section	.text._ZN2ck36kernel_gemm_mupltipe_d_wmma_cshuffleINS_26GridwiseGemmMultipleD_WmmaIaaiiNS_5TupleIJaEEEaNS_16TensorDescriptorINS2_IJNS_5EmbedINS2_IJiiEEENS2_IJiNS_17integral_constantIiLi1EEEEEELb0EEENS_11PassThroughIiEESC_NS_7UnMergeINS2_IJiNS7_IiLi8EEEEEELb0EEESC_EEENS2_IJNS_8SequenceIJLi0EEEENSI_IJLi1EEEENSI_IJLi2EEEENSI_IJLi4EEEENSI_IJLi3EEEEEEENS2_IJNSI_IJLi1ELi2EEEESN_SM_NSI_IJLi5ELi6EEEENSI_IJLi7EEEEEEENSI_IJLi5ELi7ELi6EEEElEESU_NS2_IJNS4_INS2_IJSA_SC_SC_EEENS2_IJSJ_SK_SL_EEENS2_IJSP_SN_SM_EEENSI_IJLi3ELi4EEEElEEEEESZ_NS_16tensor_operation12element_wise11PassThroughES13_12AlphaBetaAddLNS_25InMemoryDataOperationEnumE0ELi128ELi64ELi64ELi16ELi16ELi8ELi4ELi2ELi128ENSI_IJLi4ELi32ELi1EEEENSI_IJLi1ELi0ELi2EEEES17_Li2ELi8ELi8ELb0ELb1ELb1ES16_S17_S17_Li2ELi8ELi8ELb0ELb1ELb1ELi1ELi1ENSI_IJLi1ELi32ELi1ELi4EEEELi8ELi2ELNS_13LoopSchedulerE0ELNS_15PipelineVersionE0EEEaaNS2_IJPKaEEEaSU_SU_NS2_IJNS4_INS2_IJSA_SC_SC_NSD_INS2_IJiNS7_IiLi128EEEEEELb0EEENSD_INS2_IJiNS7_IiLi64EEEEEELb0EEEEEENS2_IJSJ_SK_SL_SN_SM_EEENS2_IJSP_SN_SM_SQ_NSI_IJLi7ELi8EEEEEEENSI_IJLi5ELi6ELi7ELi8EEEElEEEEES1Q_S13_S13_S14_NS_31BlockToCTileMap_M00_N0_M01AdaptILi128ELi64ESZ_iEELb1EEEvPKT0_PKT1_T2_PT3_T4_T5_T6_T7_T8_T9_T10_T11_,"axG",@progbits,_ZN2ck36kernel_gemm_mupltipe_d_wmma_cshuffleINS_26GridwiseGemmMultipleD_WmmaIaaiiNS_5TupleIJaEEEaNS_16TensorDescriptorINS2_IJNS_5EmbedINS2_IJiiEEENS2_IJiNS_17integral_constantIiLi1EEEEEELb0EEENS_11PassThroughIiEESC_NS_7UnMergeINS2_IJiNS7_IiLi8EEEEEELb0EEESC_EEENS2_IJNS_8SequenceIJLi0EEEENSI_IJLi1EEEENSI_IJLi2EEEENSI_IJLi4EEEENSI_IJLi3EEEEEEENS2_IJNSI_IJLi1ELi2EEEESN_SM_NSI_IJLi5ELi6EEEENSI_IJLi7EEEEEEENSI_IJLi5ELi7ELi6EEEElEESU_NS2_IJNS4_INS2_IJSA_SC_SC_EEENS2_IJSJ_SK_SL_EEENS2_IJSP_SN_SM_EEENSI_IJLi3ELi4EEEElEEEEESZ_NS_16tensor_operation12element_wise11PassThroughES13_12AlphaBetaAddLNS_25InMemoryDataOperationEnumE0ELi128ELi64ELi64ELi16ELi16ELi8ELi4ELi2ELi128ENSI_IJLi4ELi32ELi1EEEENSI_IJLi1ELi0ELi2EEEES17_Li2ELi8ELi8ELb0ELb1ELb1ES16_S17_S17_Li2ELi8ELi8ELb0ELb1ELb1ELi1ELi1ENSI_IJLi1ELi32ELi1ELi4EEEELi8ELi2ELNS_13LoopSchedulerE0ELNS_15PipelineVersionE0EEEaaNS2_IJPKaEEEaSU_SU_NS2_IJNS4_INS2_IJSA_SC_SC_NSD_INS2_IJiNS7_IiLi128EEEEEELb0EEENSD_INS2_IJiNS7_IiLi64EEEEEELb0EEEEEENS2_IJSJ_SK_SL_SN_SM_EEENS2_IJSP_SN_SM_SQ_NSI_IJLi7ELi8EEEEEEENSI_IJLi5ELi6ELi7ELi8EEEElEEEEES1Q_S13_S13_S14_NS_31BlockToCTileMap_M00_N0_M01AdaptILi128ELi64ESZ_iEELb1EEEvPKT0_PKT1_T2_PT3_T4_T5_T6_T7_T8_T9_T10_T11_,comdat
	.protected	_ZN2ck36kernel_gemm_mupltipe_d_wmma_cshuffleINS_26GridwiseGemmMultipleD_WmmaIaaiiNS_5TupleIJaEEEaNS_16TensorDescriptorINS2_IJNS_5EmbedINS2_IJiiEEENS2_IJiNS_17integral_constantIiLi1EEEEEELb0EEENS_11PassThroughIiEESC_NS_7UnMergeINS2_IJiNS7_IiLi8EEEEEELb0EEESC_EEENS2_IJNS_8SequenceIJLi0EEEENSI_IJLi1EEEENSI_IJLi2EEEENSI_IJLi4EEEENSI_IJLi3EEEEEEENS2_IJNSI_IJLi1ELi2EEEESN_SM_NSI_IJLi5ELi6EEEENSI_IJLi7EEEEEEENSI_IJLi5ELi7ELi6EEEElEESU_NS2_IJNS4_INS2_IJSA_SC_SC_EEENS2_IJSJ_SK_SL_EEENS2_IJSP_SN_SM_EEENSI_IJLi3ELi4EEEElEEEEESZ_NS_16tensor_operation12element_wise11PassThroughES13_12AlphaBetaAddLNS_25InMemoryDataOperationEnumE0ELi128ELi64ELi64ELi16ELi16ELi8ELi4ELi2ELi128ENSI_IJLi4ELi32ELi1EEEENSI_IJLi1ELi0ELi2EEEES17_Li2ELi8ELi8ELb0ELb1ELb1ES16_S17_S17_Li2ELi8ELi8ELb0ELb1ELb1ELi1ELi1ENSI_IJLi1ELi32ELi1ELi4EEEELi8ELi2ELNS_13LoopSchedulerE0ELNS_15PipelineVersionE0EEEaaNS2_IJPKaEEEaSU_SU_NS2_IJNS4_INS2_IJSA_SC_SC_NSD_INS2_IJiNS7_IiLi128EEEEEELb0EEENSD_INS2_IJiNS7_IiLi64EEEEEELb0EEEEEENS2_IJSJ_SK_SL_SN_SM_EEENS2_IJSP_SN_SM_SQ_NSI_IJLi7ELi8EEEEEEENSI_IJLi5ELi6ELi7ELi8EEEElEEEEES1Q_S13_S13_S14_NS_31BlockToCTileMap_M00_N0_M01AdaptILi128ELi64ESZ_iEELb1EEEvPKT0_PKT1_T2_PT3_T4_T5_T6_T7_T8_T9_T10_T11_ ; -- Begin function _ZN2ck36kernel_gemm_mupltipe_d_wmma_cshuffleINS_26GridwiseGemmMultipleD_WmmaIaaiiNS_5TupleIJaEEEaNS_16TensorDescriptorINS2_IJNS_5EmbedINS2_IJiiEEENS2_IJiNS_17integral_constantIiLi1EEEEEELb0EEENS_11PassThroughIiEESC_NS_7UnMergeINS2_IJiNS7_IiLi8EEEEEELb0EEESC_EEENS2_IJNS_8SequenceIJLi0EEEENSI_IJLi1EEEENSI_IJLi2EEEENSI_IJLi4EEEENSI_IJLi3EEEEEEENS2_IJNSI_IJLi1ELi2EEEESN_SM_NSI_IJLi5ELi6EEEENSI_IJLi7EEEEEEENSI_IJLi5ELi7ELi6EEEElEESU_NS2_IJNS4_INS2_IJSA_SC_SC_EEENS2_IJSJ_SK_SL_EEENS2_IJSP_SN_SM_EEENSI_IJLi3ELi4EEEElEEEEESZ_NS_16tensor_operation12element_wise11PassThroughES13_12AlphaBetaAddLNS_25InMemoryDataOperationEnumE0ELi128ELi64ELi64ELi16ELi16ELi8ELi4ELi2ELi128ENSI_IJLi4ELi32ELi1EEEENSI_IJLi1ELi0ELi2EEEES17_Li2ELi8ELi8ELb0ELb1ELb1ES16_S17_S17_Li2ELi8ELi8ELb0ELb1ELb1ELi1ELi1ENSI_IJLi1ELi32ELi1ELi4EEEELi8ELi2ELNS_13LoopSchedulerE0ELNS_15PipelineVersionE0EEEaaNS2_IJPKaEEEaSU_SU_NS2_IJNS4_INS2_IJSA_SC_SC_NSD_INS2_IJiNS7_IiLi128EEEEEELb0EEENSD_INS2_IJiNS7_IiLi64EEEEEELb0EEEEEENS2_IJSJ_SK_SL_SN_SM_EEENS2_IJSP_SN_SM_SQ_NSI_IJLi7ELi8EEEEEEENSI_IJLi5ELi6ELi7ELi8EEEElEEEEES1Q_S13_S13_S14_NS_31BlockToCTileMap_M00_N0_M01AdaptILi128ELi64ESZ_iEELb1EEEvPKT0_PKT1_T2_PT3_T4_T5_T6_T7_T8_T9_T10_T11_
	.globl	_ZN2ck36kernel_gemm_mupltipe_d_wmma_cshuffleINS_26GridwiseGemmMultipleD_WmmaIaaiiNS_5TupleIJaEEEaNS_16TensorDescriptorINS2_IJNS_5EmbedINS2_IJiiEEENS2_IJiNS_17integral_constantIiLi1EEEEEELb0EEENS_11PassThroughIiEESC_NS_7UnMergeINS2_IJiNS7_IiLi8EEEEEELb0EEESC_EEENS2_IJNS_8SequenceIJLi0EEEENSI_IJLi1EEEENSI_IJLi2EEEENSI_IJLi4EEEENSI_IJLi3EEEEEEENS2_IJNSI_IJLi1ELi2EEEESN_SM_NSI_IJLi5ELi6EEEENSI_IJLi7EEEEEEENSI_IJLi5ELi7ELi6EEEElEESU_NS2_IJNS4_INS2_IJSA_SC_SC_EEENS2_IJSJ_SK_SL_EEENS2_IJSP_SN_SM_EEENSI_IJLi3ELi4EEEElEEEEESZ_NS_16tensor_operation12element_wise11PassThroughES13_12AlphaBetaAddLNS_25InMemoryDataOperationEnumE0ELi128ELi64ELi64ELi16ELi16ELi8ELi4ELi2ELi128ENSI_IJLi4ELi32ELi1EEEENSI_IJLi1ELi0ELi2EEEES17_Li2ELi8ELi8ELb0ELb1ELb1ES16_S17_S17_Li2ELi8ELi8ELb0ELb1ELb1ELi1ELi1ENSI_IJLi1ELi32ELi1ELi4EEEELi8ELi2ELNS_13LoopSchedulerE0ELNS_15PipelineVersionE0EEEaaNS2_IJPKaEEEaSU_SU_NS2_IJNS4_INS2_IJSA_SC_SC_NSD_INS2_IJiNS7_IiLi128EEEEEELb0EEENSD_INS2_IJiNS7_IiLi64EEEEEELb0EEEEEENS2_IJSJ_SK_SL_SN_SM_EEENS2_IJSP_SN_SM_SQ_NSI_IJLi7ELi8EEEEEEENSI_IJLi5ELi6ELi7ELi8EEEElEEEEES1Q_S13_S13_S14_NS_31BlockToCTileMap_M00_N0_M01AdaptILi128ELi64ESZ_iEELb1EEEvPKT0_PKT1_T2_PT3_T4_T5_T6_T7_T8_T9_T10_T11_
	.p2align	8
	.type	_ZN2ck36kernel_gemm_mupltipe_d_wmma_cshuffleINS_26GridwiseGemmMultipleD_WmmaIaaiiNS_5TupleIJaEEEaNS_16TensorDescriptorINS2_IJNS_5EmbedINS2_IJiiEEENS2_IJiNS_17integral_constantIiLi1EEEEEELb0EEENS_11PassThroughIiEESC_NS_7UnMergeINS2_IJiNS7_IiLi8EEEEEELb0EEESC_EEENS2_IJNS_8SequenceIJLi0EEEENSI_IJLi1EEEENSI_IJLi2EEEENSI_IJLi4EEEENSI_IJLi3EEEEEEENS2_IJNSI_IJLi1ELi2EEEESN_SM_NSI_IJLi5ELi6EEEENSI_IJLi7EEEEEEENSI_IJLi5ELi7ELi6EEEElEESU_NS2_IJNS4_INS2_IJSA_SC_SC_EEENS2_IJSJ_SK_SL_EEENS2_IJSP_SN_SM_EEENSI_IJLi3ELi4EEEElEEEEESZ_NS_16tensor_operation12element_wise11PassThroughES13_12AlphaBetaAddLNS_25InMemoryDataOperationEnumE0ELi128ELi64ELi64ELi16ELi16ELi8ELi4ELi2ELi128ENSI_IJLi4ELi32ELi1EEEENSI_IJLi1ELi0ELi2EEEES17_Li2ELi8ELi8ELb0ELb1ELb1ES16_S17_S17_Li2ELi8ELi8ELb0ELb1ELb1ELi1ELi1ENSI_IJLi1ELi32ELi1ELi4EEEELi8ELi2ELNS_13LoopSchedulerE0ELNS_15PipelineVersionE0EEEaaNS2_IJPKaEEEaSU_SU_NS2_IJNS4_INS2_IJSA_SC_SC_NSD_INS2_IJiNS7_IiLi128EEEEEELb0EEENSD_INS2_IJiNS7_IiLi64EEEEEELb0EEEEEENS2_IJSJ_SK_SL_SN_SM_EEENS2_IJSP_SN_SM_SQ_NSI_IJLi7ELi8EEEEEEENSI_IJLi5ELi6ELi7ELi8EEEElEEEEES1Q_S13_S13_S14_NS_31BlockToCTileMap_M00_N0_M01AdaptILi128ELi64ESZ_iEELb1EEEvPKT0_PKT1_T2_PT3_T4_T5_T6_T7_T8_T9_T10_T11_,@function
_ZN2ck36kernel_gemm_mupltipe_d_wmma_cshuffleINS_26GridwiseGemmMultipleD_WmmaIaaiiNS_5TupleIJaEEEaNS_16TensorDescriptorINS2_IJNS_5EmbedINS2_IJiiEEENS2_IJiNS_17integral_constantIiLi1EEEEEELb0EEENS_11PassThroughIiEESC_NS_7UnMergeINS2_IJiNS7_IiLi8EEEEEELb0EEESC_EEENS2_IJNS_8SequenceIJLi0EEEENSI_IJLi1EEEENSI_IJLi2EEEENSI_IJLi4EEEENSI_IJLi3EEEEEEENS2_IJNSI_IJLi1ELi2EEEESN_SM_NSI_IJLi5ELi6EEEENSI_IJLi7EEEEEEENSI_IJLi5ELi7ELi6EEEElEESU_NS2_IJNS4_INS2_IJSA_SC_SC_EEENS2_IJSJ_SK_SL_EEENS2_IJSP_SN_SM_EEENSI_IJLi3ELi4EEEElEEEEESZ_NS_16tensor_operation12element_wise11PassThroughES13_12AlphaBetaAddLNS_25InMemoryDataOperationEnumE0ELi128ELi64ELi64ELi16ELi16ELi8ELi4ELi2ELi128ENSI_IJLi4ELi32ELi1EEEENSI_IJLi1ELi0ELi2EEEES17_Li2ELi8ELi8ELb0ELb1ELb1ES16_S17_S17_Li2ELi8ELi8ELb0ELb1ELb1ELi1ELi1ENSI_IJLi1ELi32ELi1ELi4EEEELi8ELi2ELNS_13LoopSchedulerE0ELNS_15PipelineVersionE0EEEaaNS2_IJPKaEEEaSU_SU_NS2_IJNS4_INS2_IJSA_SC_SC_NSD_INS2_IJiNS7_IiLi128EEEEEELb0EEENSD_INS2_IJiNS7_IiLi64EEEEEELb0EEEEEENS2_IJSJ_SK_SL_SN_SM_EEENS2_IJSP_SN_SM_SQ_NSI_IJLi7ELi8EEEEEEENSI_IJLi5ELi6ELi7ELi8EEEElEEEEES1Q_S13_S13_S14_NS_31BlockToCTileMap_M00_N0_M01AdaptILi128ELi64ESZ_iEELb1EEEvPKT0_PKT1_T2_PT3_T4_T5_T6_T7_T8_T9_T10_T11_: ; @_ZN2ck36kernel_gemm_mupltipe_d_wmma_cshuffleINS_26GridwiseGemmMultipleD_WmmaIaaiiNS_5TupleIJaEEEaNS_16TensorDescriptorINS2_IJNS_5EmbedINS2_IJiiEEENS2_IJiNS_17integral_constantIiLi1EEEEEELb0EEENS_11PassThroughIiEESC_NS_7UnMergeINS2_IJiNS7_IiLi8EEEEEELb0EEESC_EEENS2_IJNS_8SequenceIJLi0EEEENSI_IJLi1EEEENSI_IJLi2EEEENSI_IJLi4EEEENSI_IJLi3EEEEEEENS2_IJNSI_IJLi1ELi2EEEESN_SM_NSI_IJLi5ELi6EEEENSI_IJLi7EEEEEEENSI_IJLi5ELi7ELi6EEEElEESU_NS2_IJNS4_INS2_IJSA_SC_SC_EEENS2_IJSJ_SK_SL_EEENS2_IJSP_SN_SM_EEENSI_IJLi3ELi4EEEElEEEEESZ_NS_16tensor_operation12element_wise11PassThroughES13_12AlphaBetaAddLNS_25InMemoryDataOperationEnumE0ELi128ELi64ELi64ELi16ELi16ELi8ELi4ELi2ELi128ENSI_IJLi4ELi32ELi1EEEENSI_IJLi1ELi0ELi2EEEES17_Li2ELi8ELi8ELb0ELb1ELb1ES16_S17_S17_Li2ELi8ELi8ELb0ELb1ELb1ELi1ELi1ENSI_IJLi1ELi32ELi1ELi4EEEELi8ELi2ELNS_13LoopSchedulerE0ELNS_15PipelineVersionE0EEEaaNS2_IJPKaEEEaSU_SU_NS2_IJNS4_INS2_IJSA_SC_SC_NSD_INS2_IJiNS7_IiLi128EEEEEELb0EEENSD_INS2_IJiNS7_IiLi64EEEEEELb0EEEEEENS2_IJSJ_SK_SL_SN_SM_EEENS2_IJSP_SN_SM_SQ_NSI_IJLi7ELi8EEEEEEENSI_IJLi5ELi6ELi7ELi8EEEElEEEEES1Q_S13_S13_S14_NS_31BlockToCTileMap_M00_N0_M01AdaptILi128ELi64ESZ_iEELb1EEEvPKT0_PKT1_T2_PT3_T4_T5_T6_T7_T8_T9_T10_T11_
; %bb.0:
	s_endpgm
	.section	.rodata,"a",@progbits
	.p2align	6, 0x0
	.amdhsa_kernel _ZN2ck36kernel_gemm_mupltipe_d_wmma_cshuffleINS_26GridwiseGemmMultipleD_WmmaIaaiiNS_5TupleIJaEEEaNS_16TensorDescriptorINS2_IJNS_5EmbedINS2_IJiiEEENS2_IJiNS_17integral_constantIiLi1EEEEEELb0EEENS_11PassThroughIiEESC_NS_7UnMergeINS2_IJiNS7_IiLi8EEEEEELb0EEESC_EEENS2_IJNS_8SequenceIJLi0EEEENSI_IJLi1EEEENSI_IJLi2EEEENSI_IJLi4EEEENSI_IJLi3EEEEEEENS2_IJNSI_IJLi1ELi2EEEESN_SM_NSI_IJLi5ELi6EEEENSI_IJLi7EEEEEEENSI_IJLi5ELi7ELi6EEEElEESU_NS2_IJNS4_INS2_IJSA_SC_SC_EEENS2_IJSJ_SK_SL_EEENS2_IJSP_SN_SM_EEENSI_IJLi3ELi4EEEElEEEEESZ_NS_16tensor_operation12element_wise11PassThroughES13_12AlphaBetaAddLNS_25InMemoryDataOperationEnumE0ELi128ELi64ELi64ELi16ELi16ELi8ELi4ELi2ELi128ENSI_IJLi4ELi32ELi1EEEENSI_IJLi1ELi0ELi2EEEES17_Li2ELi8ELi8ELb0ELb1ELb1ES16_S17_S17_Li2ELi8ELi8ELb0ELb1ELb1ELi1ELi1ENSI_IJLi1ELi32ELi1ELi4EEEELi8ELi2ELNS_13LoopSchedulerE0ELNS_15PipelineVersionE0EEEaaNS2_IJPKaEEEaSU_SU_NS2_IJNS4_INS2_IJSA_SC_SC_NSD_INS2_IJiNS7_IiLi128EEEEEELb0EEENSD_INS2_IJiNS7_IiLi64EEEEEELb0EEEEEENS2_IJSJ_SK_SL_SN_SM_EEENS2_IJSP_SN_SM_SQ_NSI_IJLi7ELi8EEEEEEENSI_IJLi5ELi6ELi7ELi8EEEElEEEEES1Q_S13_S13_S14_NS_31BlockToCTileMap_M00_N0_M01AdaptILi128ELi64ESZ_iEELb1EEEvPKT0_PKT1_T2_PT3_T4_T5_T6_T7_T8_T9_T10_T11_
		.amdhsa_group_segment_fixed_size 0
		.amdhsa_private_segment_fixed_size 0
		.amdhsa_kernarg_size 296
		.amdhsa_user_sgpr_count 6
		.amdhsa_user_sgpr_private_segment_buffer 1
		.amdhsa_user_sgpr_dispatch_ptr 0
		.amdhsa_user_sgpr_queue_ptr 0
		.amdhsa_user_sgpr_kernarg_segment_ptr 1
		.amdhsa_user_sgpr_dispatch_id 0
		.amdhsa_user_sgpr_flat_scratch_init 0
		.amdhsa_user_sgpr_private_segment_size 0
		.amdhsa_uses_dynamic_stack 0
		.amdhsa_system_sgpr_private_segment_wavefront_offset 0
		.amdhsa_system_sgpr_workgroup_id_x 1
		.amdhsa_system_sgpr_workgroup_id_y 0
		.amdhsa_system_sgpr_workgroup_id_z 0
		.amdhsa_system_sgpr_workgroup_info 0
		.amdhsa_system_vgpr_workitem_id 0
		.amdhsa_next_free_vgpr 1
		.amdhsa_next_free_sgpr 0
		.amdhsa_reserve_vcc 0
		.amdhsa_reserve_flat_scratch 0
		.amdhsa_float_round_mode_32 0
		.amdhsa_float_round_mode_16_64 0
		.amdhsa_float_denorm_mode_32 3
		.amdhsa_float_denorm_mode_16_64 3
		.amdhsa_dx10_clamp 1
		.amdhsa_ieee_mode 1
		.amdhsa_fp16_overflow 0
		.amdhsa_exception_fp_ieee_invalid_op 0
		.amdhsa_exception_fp_denorm_src 0
		.amdhsa_exception_fp_ieee_div_zero 0
		.amdhsa_exception_fp_ieee_overflow 0
		.amdhsa_exception_fp_ieee_underflow 0
		.amdhsa_exception_fp_ieee_inexact 0
		.amdhsa_exception_int_div_zero 0
	.end_amdhsa_kernel
	.section	.text._ZN2ck36kernel_gemm_mupltipe_d_wmma_cshuffleINS_26GridwiseGemmMultipleD_WmmaIaaiiNS_5TupleIJaEEEaNS_16TensorDescriptorINS2_IJNS_5EmbedINS2_IJiiEEENS2_IJiNS_17integral_constantIiLi1EEEEEELb0EEENS_11PassThroughIiEESC_NS_7UnMergeINS2_IJiNS7_IiLi8EEEEEELb0EEESC_EEENS2_IJNS_8SequenceIJLi0EEEENSI_IJLi1EEEENSI_IJLi2EEEENSI_IJLi4EEEENSI_IJLi3EEEEEEENS2_IJNSI_IJLi1ELi2EEEESN_SM_NSI_IJLi5ELi6EEEENSI_IJLi7EEEEEEENSI_IJLi5ELi7ELi6EEEElEESU_NS2_IJNS4_INS2_IJSA_SC_SC_EEENS2_IJSJ_SK_SL_EEENS2_IJSP_SN_SM_EEENSI_IJLi3ELi4EEEElEEEEESZ_NS_16tensor_operation12element_wise11PassThroughES13_12AlphaBetaAddLNS_25InMemoryDataOperationEnumE0ELi128ELi64ELi64ELi16ELi16ELi8ELi4ELi2ELi128ENSI_IJLi4ELi32ELi1EEEENSI_IJLi1ELi0ELi2EEEES17_Li2ELi8ELi8ELb0ELb1ELb1ES16_S17_S17_Li2ELi8ELi8ELb0ELb1ELb1ELi1ELi1ENSI_IJLi1ELi32ELi1ELi4EEEELi8ELi2ELNS_13LoopSchedulerE0ELNS_15PipelineVersionE0EEEaaNS2_IJPKaEEEaSU_SU_NS2_IJNS4_INS2_IJSA_SC_SC_NSD_INS2_IJiNS7_IiLi128EEEEEELb0EEENSD_INS2_IJiNS7_IiLi64EEEEEELb0EEEEEENS2_IJSJ_SK_SL_SN_SM_EEENS2_IJSP_SN_SM_SQ_NSI_IJLi7ELi8EEEEEEENSI_IJLi5ELi6ELi7ELi8EEEElEEEEES1Q_S13_S13_S14_NS_31BlockToCTileMap_M00_N0_M01AdaptILi128ELi64ESZ_iEELb1EEEvPKT0_PKT1_T2_PT3_T4_T5_T6_T7_T8_T9_T10_T11_,"axG",@progbits,_ZN2ck36kernel_gemm_mupltipe_d_wmma_cshuffleINS_26GridwiseGemmMultipleD_WmmaIaaiiNS_5TupleIJaEEEaNS_16TensorDescriptorINS2_IJNS_5EmbedINS2_IJiiEEENS2_IJiNS_17integral_constantIiLi1EEEEEELb0EEENS_11PassThroughIiEESC_NS_7UnMergeINS2_IJiNS7_IiLi8EEEEEELb0EEESC_EEENS2_IJNS_8SequenceIJLi0EEEENSI_IJLi1EEEENSI_IJLi2EEEENSI_IJLi4EEEENSI_IJLi3EEEEEEENS2_IJNSI_IJLi1ELi2EEEESN_SM_NSI_IJLi5ELi6EEEENSI_IJLi7EEEEEEENSI_IJLi5ELi7ELi6EEEElEESU_NS2_IJNS4_INS2_IJSA_SC_SC_EEENS2_IJSJ_SK_SL_EEENS2_IJSP_SN_SM_EEENSI_IJLi3ELi4EEEElEEEEESZ_NS_16tensor_operation12element_wise11PassThroughES13_12AlphaBetaAddLNS_25InMemoryDataOperationEnumE0ELi128ELi64ELi64ELi16ELi16ELi8ELi4ELi2ELi128ENSI_IJLi4ELi32ELi1EEEENSI_IJLi1ELi0ELi2EEEES17_Li2ELi8ELi8ELb0ELb1ELb1ES16_S17_S17_Li2ELi8ELi8ELb0ELb1ELb1ELi1ELi1ENSI_IJLi1ELi32ELi1ELi4EEEELi8ELi2ELNS_13LoopSchedulerE0ELNS_15PipelineVersionE0EEEaaNS2_IJPKaEEEaSU_SU_NS2_IJNS4_INS2_IJSA_SC_SC_NSD_INS2_IJiNS7_IiLi128EEEEEELb0EEENSD_INS2_IJiNS7_IiLi64EEEEEELb0EEEEEENS2_IJSJ_SK_SL_SN_SM_EEENS2_IJSP_SN_SM_SQ_NSI_IJLi7ELi8EEEEEEENSI_IJLi5ELi6ELi7ELi8EEEElEEEEES1Q_S13_S13_S14_NS_31BlockToCTileMap_M00_N0_M01AdaptILi128ELi64ESZ_iEELb1EEEvPKT0_PKT1_T2_PT3_T4_T5_T6_T7_T8_T9_T10_T11_,comdat
.Lfunc_end1:
	.size	_ZN2ck36kernel_gemm_mupltipe_d_wmma_cshuffleINS_26GridwiseGemmMultipleD_WmmaIaaiiNS_5TupleIJaEEEaNS_16TensorDescriptorINS2_IJNS_5EmbedINS2_IJiiEEENS2_IJiNS_17integral_constantIiLi1EEEEEELb0EEENS_11PassThroughIiEESC_NS_7UnMergeINS2_IJiNS7_IiLi8EEEEEELb0EEESC_EEENS2_IJNS_8SequenceIJLi0EEEENSI_IJLi1EEEENSI_IJLi2EEEENSI_IJLi4EEEENSI_IJLi3EEEEEEENS2_IJNSI_IJLi1ELi2EEEESN_SM_NSI_IJLi5ELi6EEEENSI_IJLi7EEEEEEENSI_IJLi5ELi7ELi6EEEElEESU_NS2_IJNS4_INS2_IJSA_SC_SC_EEENS2_IJSJ_SK_SL_EEENS2_IJSP_SN_SM_EEENSI_IJLi3ELi4EEEElEEEEESZ_NS_16tensor_operation12element_wise11PassThroughES13_12AlphaBetaAddLNS_25InMemoryDataOperationEnumE0ELi128ELi64ELi64ELi16ELi16ELi8ELi4ELi2ELi128ENSI_IJLi4ELi32ELi1EEEENSI_IJLi1ELi0ELi2EEEES17_Li2ELi8ELi8ELb0ELb1ELb1ES16_S17_S17_Li2ELi8ELi8ELb0ELb1ELb1ELi1ELi1ENSI_IJLi1ELi32ELi1ELi4EEEELi8ELi2ELNS_13LoopSchedulerE0ELNS_15PipelineVersionE0EEEaaNS2_IJPKaEEEaSU_SU_NS2_IJNS4_INS2_IJSA_SC_SC_NSD_INS2_IJiNS7_IiLi128EEEEEELb0EEENSD_INS2_IJiNS7_IiLi64EEEEEELb0EEEEEENS2_IJSJ_SK_SL_SN_SM_EEENS2_IJSP_SN_SM_SQ_NSI_IJLi7ELi8EEEEEEENSI_IJLi5ELi6ELi7ELi8EEEElEEEEES1Q_S13_S13_S14_NS_31BlockToCTileMap_M00_N0_M01AdaptILi128ELi64ESZ_iEELb1EEEvPKT0_PKT1_T2_PT3_T4_T5_T6_T7_T8_T9_T10_T11_, .Lfunc_end1-_ZN2ck36kernel_gemm_mupltipe_d_wmma_cshuffleINS_26GridwiseGemmMultipleD_WmmaIaaiiNS_5TupleIJaEEEaNS_16TensorDescriptorINS2_IJNS_5EmbedINS2_IJiiEEENS2_IJiNS_17integral_constantIiLi1EEEEEELb0EEENS_11PassThroughIiEESC_NS_7UnMergeINS2_IJiNS7_IiLi8EEEEEELb0EEESC_EEENS2_IJNS_8SequenceIJLi0EEEENSI_IJLi1EEEENSI_IJLi2EEEENSI_IJLi4EEEENSI_IJLi3EEEEEEENS2_IJNSI_IJLi1ELi2EEEESN_SM_NSI_IJLi5ELi6EEEENSI_IJLi7EEEEEEENSI_IJLi5ELi7ELi6EEEElEESU_NS2_IJNS4_INS2_IJSA_SC_SC_EEENS2_IJSJ_SK_SL_EEENS2_IJSP_SN_SM_EEENSI_IJLi3ELi4EEEElEEEEESZ_NS_16tensor_operation12element_wise11PassThroughES13_12AlphaBetaAddLNS_25InMemoryDataOperationEnumE0ELi128ELi64ELi64ELi16ELi16ELi8ELi4ELi2ELi128ENSI_IJLi4ELi32ELi1EEEENSI_IJLi1ELi0ELi2EEEES17_Li2ELi8ELi8ELb0ELb1ELb1ES16_S17_S17_Li2ELi8ELi8ELb0ELb1ELb1ELi1ELi1ENSI_IJLi1ELi32ELi1ELi4EEEELi8ELi2ELNS_13LoopSchedulerE0ELNS_15PipelineVersionE0EEEaaNS2_IJPKaEEEaSU_SU_NS2_IJNS4_INS2_IJSA_SC_SC_NSD_INS2_IJiNS7_IiLi128EEEEEELb0EEENSD_INS2_IJiNS7_IiLi64EEEEEELb0EEEEEENS2_IJSJ_SK_SL_SN_SM_EEENS2_IJSP_SN_SM_SQ_NSI_IJLi7ELi8EEEEEEENSI_IJLi5ELi6ELi7ELi8EEEElEEEEES1Q_S13_S13_S14_NS_31BlockToCTileMap_M00_N0_M01AdaptILi128ELi64ESZ_iEELb1EEEvPKT0_PKT1_T2_PT3_T4_T5_T6_T7_T8_T9_T10_T11_
                                        ; -- End function
	.set _ZN2ck36kernel_gemm_mupltipe_d_wmma_cshuffleINS_26GridwiseGemmMultipleD_WmmaIaaiiNS_5TupleIJaEEEaNS_16TensorDescriptorINS2_IJNS_5EmbedINS2_IJiiEEENS2_IJiNS_17integral_constantIiLi1EEEEEELb0EEENS_11PassThroughIiEESC_NS_7UnMergeINS2_IJiNS7_IiLi8EEEEEELb0EEESC_EEENS2_IJNS_8SequenceIJLi0EEEENSI_IJLi1EEEENSI_IJLi2EEEENSI_IJLi4EEEENSI_IJLi3EEEEEEENS2_IJNSI_IJLi1ELi2EEEESN_SM_NSI_IJLi5ELi6EEEENSI_IJLi7EEEEEEENSI_IJLi5ELi7ELi6EEEElEESU_NS2_IJNS4_INS2_IJSA_SC_SC_EEENS2_IJSJ_SK_SL_EEENS2_IJSP_SN_SM_EEENSI_IJLi3ELi4EEEElEEEEESZ_NS_16tensor_operation12element_wise11PassThroughES13_12AlphaBetaAddLNS_25InMemoryDataOperationEnumE0ELi128ELi64ELi64ELi16ELi16ELi8ELi4ELi2ELi128ENSI_IJLi4ELi32ELi1EEEENSI_IJLi1ELi0ELi2EEEES17_Li2ELi8ELi8ELb0ELb1ELb1ES16_S17_S17_Li2ELi8ELi8ELb0ELb1ELb1ELi1ELi1ENSI_IJLi1ELi32ELi1ELi4EEEELi8ELi2ELNS_13LoopSchedulerE0ELNS_15PipelineVersionE0EEEaaNS2_IJPKaEEEaSU_SU_NS2_IJNS4_INS2_IJSA_SC_SC_NSD_INS2_IJiNS7_IiLi128EEEEEELb0EEENSD_INS2_IJiNS7_IiLi64EEEEEELb0EEEEEENS2_IJSJ_SK_SL_SN_SM_EEENS2_IJSP_SN_SM_SQ_NSI_IJLi7ELi8EEEEEEENSI_IJLi5ELi6ELi7ELi8EEEElEEEEES1Q_S13_S13_S14_NS_31BlockToCTileMap_M00_N0_M01AdaptILi128ELi64ESZ_iEELb1EEEvPKT0_PKT1_T2_PT3_T4_T5_T6_T7_T8_T9_T10_T11_.num_vgpr, 0
	.set _ZN2ck36kernel_gemm_mupltipe_d_wmma_cshuffleINS_26GridwiseGemmMultipleD_WmmaIaaiiNS_5TupleIJaEEEaNS_16TensorDescriptorINS2_IJNS_5EmbedINS2_IJiiEEENS2_IJiNS_17integral_constantIiLi1EEEEEELb0EEENS_11PassThroughIiEESC_NS_7UnMergeINS2_IJiNS7_IiLi8EEEEEELb0EEESC_EEENS2_IJNS_8SequenceIJLi0EEEENSI_IJLi1EEEENSI_IJLi2EEEENSI_IJLi4EEEENSI_IJLi3EEEEEEENS2_IJNSI_IJLi1ELi2EEEESN_SM_NSI_IJLi5ELi6EEEENSI_IJLi7EEEEEEENSI_IJLi5ELi7ELi6EEEElEESU_NS2_IJNS4_INS2_IJSA_SC_SC_EEENS2_IJSJ_SK_SL_EEENS2_IJSP_SN_SM_EEENSI_IJLi3ELi4EEEElEEEEESZ_NS_16tensor_operation12element_wise11PassThroughES13_12AlphaBetaAddLNS_25InMemoryDataOperationEnumE0ELi128ELi64ELi64ELi16ELi16ELi8ELi4ELi2ELi128ENSI_IJLi4ELi32ELi1EEEENSI_IJLi1ELi0ELi2EEEES17_Li2ELi8ELi8ELb0ELb1ELb1ES16_S17_S17_Li2ELi8ELi8ELb0ELb1ELb1ELi1ELi1ENSI_IJLi1ELi32ELi1ELi4EEEELi8ELi2ELNS_13LoopSchedulerE0ELNS_15PipelineVersionE0EEEaaNS2_IJPKaEEEaSU_SU_NS2_IJNS4_INS2_IJSA_SC_SC_NSD_INS2_IJiNS7_IiLi128EEEEEELb0EEENSD_INS2_IJiNS7_IiLi64EEEEEELb0EEEEEENS2_IJSJ_SK_SL_SN_SM_EEENS2_IJSP_SN_SM_SQ_NSI_IJLi7ELi8EEEEEEENSI_IJLi5ELi6ELi7ELi8EEEElEEEEES1Q_S13_S13_S14_NS_31BlockToCTileMap_M00_N0_M01AdaptILi128ELi64ESZ_iEELb1EEEvPKT0_PKT1_T2_PT3_T4_T5_T6_T7_T8_T9_T10_T11_.num_agpr, 0
	.set _ZN2ck36kernel_gemm_mupltipe_d_wmma_cshuffleINS_26GridwiseGemmMultipleD_WmmaIaaiiNS_5TupleIJaEEEaNS_16TensorDescriptorINS2_IJNS_5EmbedINS2_IJiiEEENS2_IJiNS_17integral_constantIiLi1EEEEEELb0EEENS_11PassThroughIiEESC_NS_7UnMergeINS2_IJiNS7_IiLi8EEEEEELb0EEESC_EEENS2_IJNS_8SequenceIJLi0EEEENSI_IJLi1EEEENSI_IJLi2EEEENSI_IJLi4EEEENSI_IJLi3EEEEEEENS2_IJNSI_IJLi1ELi2EEEESN_SM_NSI_IJLi5ELi6EEEENSI_IJLi7EEEEEEENSI_IJLi5ELi7ELi6EEEElEESU_NS2_IJNS4_INS2_IJSA_SC_SC_EEENS2_IJSJ_SK_SL_EEENS2_IJSP_SN_SM_EEENSI_IJLi3ELi4EEEElEEEEESZ_NS_16tensor_operation12element_wise11PassThroughES13_12AlphaBetaAddLNS_25InMemoryDataOperationEnumE0ELi128ELi64ELi64ELi16ELi16ELi8ELi4ELi2ELi128ENSI_IJLi4ELi32ELi1EEEENSI_IJLi1ELi0ELi2EEEES17_Li2ELi8ELi8ELb0ELb1ELb1ES16_S17_S17_Li2ELi8ELi8ELb0ELb1ELb1ELi1ELi1ENSI_IJLi1ELi32ELi1ELi4EEEELi8ELi2ELNS_13LoopSchedulerE0ELNS_15PipelineVersionE0EEEaaNS2_IJPKaEEEaSU_SU_NS2_IJNS4_INS2_IJSA_SC_SC_NSD_INS2_IJiNS7_IiLi128EEEEEELb0EEENSD_INS2_IJiNS7_IiLi64EEEEEELb0EEEEEENS2_IJSJ_SK_SL_SN_SM_EEENS2_IJSP_SN_SM_SQ_NSI_IJLi7ELi8EEEEEEENSI_IJLi5ELi6ELi7ELi8EEEElEEEEES1Q_S13_S13_S14_NS_31BlockToCTileMap_M00_N0_M01AdaptILi128ELi64ESZ_iEELb1EEEvPKT0_PKT1_T2_PT3_T4_T5_T6_T7_T8_T9_T10_T11_.numbered_sgpr, 0
	.set _ZN2ck36kernel_gemm_mupltipe_d_wmma_cshuffleINS_26GridwiseGemmMultipleD_WmmaIaaiiNS_5TupleIJaEEEaNS_16TensorDescriptorINS2_IJNS_5EmbedINS2_IJiiEEENS2_IJiNS_17integral_constantIiLi1EEEEEELb0EEENS_11PassThroughIiEESC_NS_7UnMergeINS2_IJiNS7_IiLi8EEEEEELb0EEESC_EEENS2_IJNS_8SequenceIJLi0EEEENSI_IJLi1EEEENSI_IJLi2EEEENSI_IJLi4EEEENSI_IJLi3EEEEEEENS2_IJNSI_IJLi1ELi2EEEESN_SM_NSI_IJLi5ELi6EEEENSI_IJLi7EEEEEEENSI_IJLi5ELi7ELi6EEEElEESU_NS2_IJNS4_INS2_IJSA_SC_SC_EEENS2_IJSJ_SK_SL_EEENS2_IJSP_SN_SM_EEENSI_IJLi3ELi4EEEElEEEEESZ_NS_16tensor_operation12element_wise11PassThroughES13_12AlphaBetaAddLNS_25InMemoryDataOperationEnumE0ELi128ELi64ELi64ELi16ELi16ELi8ELi4ELi2ELi128ENSI_IJLi4ELi32ELi1EEEENSI_IJLi1ELi0ELi2EEEES17_Li2ELi8ELi8ELb0ELb1ELb1ES16_S17_S17_Li2ELi8ELi8ELb0ELb1ELb1ELi1ELi1ENSI_IJLi1ELi32ELi1ELi4EEEELi8ELi2ELNS_13LoopSchedulerE0ELNS_15PipelineVersionE0EEEaaNS2_IJPKaEEEaSU_SU_NS2_IJNS4_INS2_IJSA_SC_SC_NSD_INS2_IJiNS7_IiLi128EEEEEELb0EEENSD_INS2_IJiNS7_IiLi64EEEEEELb0EEEEEENS2_IJSJ_SK_SL_SN_SM_EEENS2_IJSP_SN_SM_SQ_NSI_IJLi7ELi8EEEEEEENSI_IJLi5ELi6ELi7ELi8EEEElEEEEES1Q_S13_S13_S14_NS_31BlockToCTileMap_M00_N0_M01AdaptILi128ELi64ESZ_iEELb1EEEvPKT0_PKT1_T2_PT3_T4_T5_T6_T7_T8_T9_T10_T11_.num_named_barrier, 0
	.set _ZN2ck36kernel_gemm_mupltipe_d_wmma_cshuffleINS_26GridwiseGemmMultipleD_WmmaIaaiiNS_5TupleIJaEEEaNS_16TensorDescriptorINS2_IJNS_5EmbedINS2_IJiiEEENS2_IJiNS_17integral_constantIiLi1EEEEEELb0EEENS_11PassThroughIiEESC_NS_7UnMergeINS2_IJiNS7_IiLi8EEEEEELb0EEESC_EEENS2_IJNS_8SequenceIJLi0EEEENSI_IJLi1EEEENSI_IJLi2EEEENSI_IJLi4EEEENSI_IJLi3EEEEEEENS2_IJNSI_IJLi1ELi2EEEESN_SM_NSI_IJLi5ELi6EEEENSI_IJLi7EEEEEEENSI_IJLi5ELi7ELi6EEEElEESU_NS2_IJNS4_INS2_IJSA_SC_SC_EEENS2_IJSJ_SK_SL_EEENS2_IJSP_SN_SM_EEENSI_IJLi3ELi4EEEElEEEEESZ_NS_16tensor_operation12element_wise11PassThroughES13_12AlphaBetaAddLNS_25InMemoryDataOperationEnumE0ELi128ELi64ELi64ELi16ELi16ELi8ELi4ELi2ELi128ENSI_IJLi4ELi32ELi1EEEENSI_IJLi1ELi0ELi2EEEES17_Li2ELi8ELi8ELb0ELb1ELb1ES16_S17_S17_Li2ELi8ELi8ELb0ELb1ELb1ELi1ELi1ENSI_IJLi1ELi32ELi1ELi4EEEELi8ELi2ELNS_13LoopSchedulerE0ELNS_15PipelineVersionE0EEEaaNS2_IJPKaEEEaSU_SU_NS2_IJNS4_INS2_IJSA_SC_SC_NSD_INS2_IJiNS7_IiLi128EEEEEELb0EEENSD_INS2_IJiNS7_IiLi64EEEEEELb0EEEEEENS2_IJSJ_SK_SL_SN_SM_EEENS2_IJSP_SN_SM_SQ_NSI_IJLi7ELi8EEEEEEENSI_IJLi5ELi6ELi7ELi8EEEElEEEEES1Q_S13_S13_S14_NS_31BlockToCTileMap_M00_N0_M01AdaptILi128ELi64ESZ_iEELb1EEEvPKT0_PKT1_T2_PT3_T4_T5_T6_T7_T8_T9_T10_T11_.private_seg_size, 0
	.set _ZN2ck36kernel_gemm_mupltipe_d_wmma_cshuffleINS_26GridwiseGemmMultipleD_WmmaIaaiiNS_5TupleIJaEEEaNS_16TensorDescriptorINS2_IJNS_5EmbedINS2_IJiiEEENS2_IJiNS_17integral_constantIiLi1EEEEEELb0EEENS_11PassThroughIiEESC_NS_7UnMergeINS2_IJiNS7_IiLi8EEEEEELb0EEESC_EEENS2_IJNS_8SequenceIJLi0EEEENSI_IJLi1EEEENSI_IJLi2EEEENSI_IJLi4EEEENSI_IJLi3EEEEEEENS2_IJNSI_IJLi1ELi2EEEESN_SM_NSI_IJLi5ELi6EEEENSI_IJLi7EEEEEEENSI_IJLi5ELi7ELi6EEEElEESU_NS2_IJNS4_INS2_IJSA_SC_SC_EEENS2_IJSJ_SK_SL_EEENS2_IJSP_SN_SM_EEENSI_IJLi3ELi4EEEElEEEEESZ_NS_16tensor_operation12element_wise11PassThroughES13_12AlphaBetaAddLNS_25InMemoryDataOperationEnumE0ELi128ELi64ELi64ELi16ELi16ELi8ELi4ELi2ELi128ENSI_IJLi4ELi32ELi1EEEENSI_IJLi1ELi0ELi2EEEES17_Li2ELi8ELi8ELb0ELb1ELb1ES16_S17_S17_Li2ELi8ELi8ELb0ELb1ELb1ELi1ELi1ENSI_IJLi1ELi32ELi1ELi4EEEELi8ELi2ELNS_13LoopSchedulerE0ELNS_15PipelineVersionE0EEEaaNS2_IJPKaEEEaSU_SU_NS2_IJNS4_INS2_IJSA_SC_SC_NSD_INS2_IJiNS7_IiLi128EEEEEELb0EEENSD_INS2_IJiNS7_IiLi64EEEEEELb0EEEEEENS2_IJSJ_SK_SL_SN_SM_EEENS2_IJSP_SN_SM_SQ_NSI_IJLi7ELi8EEEEEEENSI_IJLi5ELi6ELi7ELi8EEEElEEEEES1Q_S13_S13_S14_NS_31BlockToCTileMap_M00_N0_M01AdaptILi128ELi64ESZ_iEELb1EEEvPKT0_PKT1_T2_PT3_T4_T5_T6_T7_T8_T9_T10_T11_.uses_vcc, 0
	.set _ZN2ck36kernel_gemm_mupltipe_d_wmma_cshuffleINS_26GridwiseGemmMultipleD_WmmaIaaiiNS_5TupleIJaEEEaNS_16TensorDescriptorINS2_IJNS_5EmbedINS2_IJiiEEENS2_IJiNS_17integral_constantIiLi1EEEEEELb0EEENS_11PassThroughIiEESC_NS_7UnMergeINS2_IJiNS7_IiLi8EEEEEELb0EEESC_EEENS2_IJNS_8SequenceIJLi0EEEENSI_IJLi1EEEENSI_IJLi2EEEENSI_IJLi4EEEENSI_IJLi3EEEEEEENS2_IJNSI_IJLi1ELi2EEEESN_SM_NSI_IJLi5ELi6EEEENSI_IJLi7EEEEEEENSI_IJLi5ELi7ELi6EEEElEESU_NS2_IJNS4_INS2_IJSA_SC_SC_EEENS2_IJSJ_SK_SL_EEENS2_IJSP_SN_SM_EEENSI_IJLi3ELi4EEEElEEEEESZ_NS_16tensor_operation12element_wise11PassThroughES13_12AlphaBetaAddLNS_25InMemoryDataOperationEnumE0ELi128ELi64ELi64ELi16ELi16ELi8ELi4ELi2ELi128ENSI_IJLi4ELi32ELi1EEEENSI_IJLi1ELi0ELi2EEEES17_Li2ELi8ELi8ELb0ELb1ELb1ES16_S17_S17_Li2ELi8ELi8ELb0ELb1ELb1ELi1ELi1ENSI_IJLi1ELi32ELi1ELi4EEEELi8ELi2ELNS_13LoopSchedulerE0ELNS_15PipelineVersionE0EEEaaNS2_IJPKaEEEaSU_SU_NS2_IJNS4_INS2_IJSA_SC_SC_NSD_INS2_IJiNS7_IiLi128EEEEEELb0EEENSD_INS2_IJiNS7_IiLi64EEEEEELb0EEEEEENS2_IJSJ_SK_SL_SN_SM_EEENS2_IJSP_SN_SM_SQ_NSI_IJLi7ELi8EEEEEEENSI_IJLi5ELi6ELi7ELi8EEEElEEEEES1Q_S13_S13_S14_NS_31BlockToCTileMap_M00_N0_M01AdaptILi128ELi64ESZ_iEELb1EEEvPKT0_PKT1_T2_PT3_T4_T5_T6_T7_T8_T9_T10_T11_.uses_flat_scratch, 0
	.set _ZN2ck36kernel_gemm_mupltipe_d_wmma_cshuffleINS_26GridwiseGemmMultipleD_WmmaIaaiiNS_5TupleIJaEEEaNS_16TensorDescriptorINS2_IJNS_5EmbedINS2_IJiiEEENS2_IJiNS_17integral_constantIiLi1EEEEEELb0EEENS_11PassThroughIiEESC_NS_7UnMergeINS2_IJiNS7_IiLi8EEEEEELb0EEESC_EEENS2_IJNS_8SequenceIJLi0EEEENSI_IJLi1EEEENSI_IJLi2EEEENSI_IJLi4EEEENSI_IJLi3EEEEEEENS2_IJNSI_IJLi1ELi2EEEESN_SM_NSI_IJLi5ELi6EEEENSI_IJLi7EEEEEEENSI_IJLi5ELi7ELi6EEEElEESU_NS2_IJNS4_INS2_IJSA_SC_SC_EEENS2_IJSJ_SK_SL_EEENS2_IJSP_SN_SM_EEENSI_IJLi3ELi4EEEElEEEEESZ_NS_16tensor_operation12element_wise11PassThroughES13_12AlphaBetaAddLNS_25InMemoryDataOperationEnumE0ELi128ELi64ELi64ELi16ELi16ELi8ELi4ELi2ELi128ENSI_IJLi4ELi32ELi1EEEENSI_IJLi1ELi0ELi2EEEES17_Li2ELi8ELi8ELb0ELb1ELb1ES16_S17_S17_Li2ELi8ELi8ELb0ELb1ELb1ELi1ELi1ENSI_IJLi1ELi32ELi1ELi4EEEELi8ELi2ELNS_13LoopSchedulerE0ELNS_15PipelineVersionE0EEEaaNS2_IJPKaEEEaSU_SU_NS2_IJNS4_INS2_IJSA_SC_SC_NSD_INS2_IJiNS7_IiLi128EEEEEELb0EEENSD_INS2_IJiNS7_IiLi64EEEEEELb0EEEEEENS2_IJSJ_SK_SL_SN_SM_EEENS2_IJSP_SN_SM_SQ_NSI_IJLi7ELi8EEEEEEENSI_IJLi5ELi6ELi7ELi8EEEElEEEEES1Q_S13_S13_S14_NS_31BlockToCTileMap_M00_N0_M01AdaptILi128ELi64ESZ_iEELb1EEEvPKT0_PKT1_T2_PT3_T4_T5_T6_T7_T8_T9_T10_T11_.has_dyn_sized_stack, 0
	.set _ZN2ck36kernel_gemm_mupltipe_d_wmma_cshuffleINS_26GridwiseGemmMultipleD_WmmaIaaiiNS_5TupleIJaEEEaNS_16TensorDescriptorINS2_IJNS_5EmbedINS2_IJiiEEENS2_IJiNS_17integral_constantIiLi1EEEEEELb0EEENS_11PassThroughIiEESC_NS_7UnMergeINS2_IJiNS7_IiLi8EEEEEELb0EEESC_EEENS2_IJNS_8SequenceIJLi0EEEENSI_IJLi1EEEENSI_IJLi2EEEENSI_IJLi4EEEENSI_IJLi3EEEEEEENS2_IJNSI_IJLi1ELi2EEEESN_SM_NSI_IJLi5ELi6EEEENSI_IJLi7EEEEEEENSI_IJLi5ELi7ELi6EEEElEESU_NS2_IJNS4_INS2_IJSA_SC_SC_EEENS2_IJSJ_SK_SL_EEENS2_IJSP_SN_SM_EEENSI_IJLi3ELi4EEEElEEEEESZ_NS_16tensor_operation12element_wise11PassThroughES13_12AlphaBetaAddLNS_25InMemoryDataOperationEnumE0ELi128ELi64ELi64ELi16ELi16ELi8ELi4ELi2ELi128ENSI_IJLi4ELi32ELi1EEEENSI_IJLi1ELi0ELi2EEEES17_Li2ELi8ELi8ELb0ELb1ELb1ES16_S17_S17_Li2ELi8ELi8ELb0ELb1ELb1ELi1ELi1ENSI_IJLi1ELi32ELi1ELi4EEEELi8ELi2ELNS_13LoopSchedulerE0ELNS_15PipelineVersionE0EEEaaNS2_IJPKaEEEaSU_SU_NS2_IJNS4_INS2_IJSA_SC_SC_NSD_INS2_IJiNS7_IiLi128EEEEEELb0EEENSD_INS2_IJiNS7_IiLi64EEEEEELb0EEEEEENS2_IJSJ_SK_SL_SN_SM_EEENS2_IJSP_SN_SM_SQ_NSI_IJLi7ELi8EEEEEEENSI_IJLi5ELi6ELi7ELi8EEEElEEEEES1Q_S13_S13_S14_NS_31BlockToCTileMap_M00_N0_M01AdaptILi128ELi64ESZ_iEELb1EEEvPKT0_PKT1_T2_PT3_T4_T5_T6_T7_T8_T9_T10_T11_.has_recursion, 0
	.set _ZN2ck36kernel_gemm_mupltipe_d_wmma_cshuffleINS_26GridwiseGemmMultipleD_WmmaIaaiiNS_5TupleIJaEEEaNS_16TensorDescriptorINS2_IJNS_5EmbedINS2_IJiiEEENS2_IJiNS_17integral_constantIiLi1EEEEEELb0EEENS_11PassThroughIiEESC_NS_7UnMergeINS2_IJiNS7_IiLi8EEEEEELb0EEESC_EEENS2_IJNS_8SequenceIJLi0EEEENSI_IJLi1EEEENSI_IJLi2EEEENSI_IJLi4EEEENSI_IJLi3EEEEEEENS2_IJNSI_IJLi1ELi2EEEESN_SM_NSI_IJLi5ELi6EEEENSI_IJLi7EEEEEEENSI_IJLi5ELi7ELi6EEEElEESU_NS2_IJNS4_INS2_IJSA_SC_SC_EEENS2_IJSJ_SK_SL_EEENS2_IJSP_SN_SM_EEENSI_IJLi3ELi4EEEElEEEEESZ_NS_16tensor_operation12element_wise11PassThroughES13_12AlphaBetaAddLNS_25InMemoryDataOperationEnumE0ELi128ELi64ELi64ELi16ELi16ELi8ELi4ELi2ELi128ENSI_IJLi4ELi32ELi1EEEENSI_IJLi1ELi0ELi2EEEES17_Li2ELi8ELi8ELb0ELb1ELb1ES16_S17_S17_Li2ELi8ELi8ELb0ELb1ELb1ELi1ELi1ENSI_IJLi1ELi32ELi1ELi4EEEELi8ELi2ELNS_13LoopSchedulerE0ELNS_15PipelineVersionE0EEEaaNS2_IJPKaEEEaSU_SU_NS2_IJNS4_INS2_IJSA_SC_SC_NSD_INS2_IJiNS7_IiLi128EEEEEELb0EEENSD_INS2_IJiNS7_IiLi64EEEEEELb0EEEEEENS2_IJSJ_SK_SL_SN_SM_EEENS2_IJSP_SN_SM_SQ_NSI_IJLi7ELi8EEEEEEENSI_IJLi5ELi6ELi7ELi8EEEElEEEEES1Q_S13_S13_S14_NS_31BlockToCTileMap_M00_N0_M01AdaptILi128ELi64ESZ_iEELb1EEEvPKT0_PKT1_T2_PT3_T4_T5_T6_T7_T8_T9_T10_T11_.has_indirect_call, 0
	.section	.AMDGPU.csdata,"",@progbits
; Kernel info:
; codeLenInByte = 4
; TotalNumSgprs: 4
; NumVgprs: 0
; ScratchSize: 0
; MemoryBound: 0
; FloatMode: 240
; IeeeMode: 1
; LDSByteSize: 0 bytes/workgroup (compile time only)
; SGPRBlocks: 0
; VGPRBlocks: 0
; NumSGPRsForWavesPerEU: 4
; NumVGPRsForWavesPerEU: 1
; Occupancy: 10
; WaveLimiterHint : 0
; COMPUTE_PGM_RSRC2:SCRATCH_EN: 0
; COMPUTE_PGM_RSRC2:USER_SGPR: 6
; COMPUTE_PGM_RSRC2:TRAP_HANDLER: 0
; COMPUTE_PGM_RSRC2:TGID_X_EN: 1
; COMPUTE_PGM_RSRC2:TGID_Y_EN: 0
; COMPUTE_PGM_RSRC2:TGID_Z_EN: 0
; COMPUTE_PGM_RSRC2:TIDIG_COMP_CNT: 0
	.section	.text._ZN2ck36kernel_gemm_mupltipe_d_wmma_cshuffleINS_26GridwiseGemmMultipleD_WmmaIaaiiNS_5TupleIJaEEEaNS_16TensorDescriptorINS2_IJNS_5EmbedINS2_IJiiEEENS2_IJiNS_17integral_constantIiLi1EEEEEELb0EEENS_11PassThroughIiEESC_NS_7UnMergeINS2_IJiNS7_IiLi8EEEEEELb0EEESC_EEENS2_IJNS_8SequenceIJLi0EEEENSI_IJLi1EEEENSI_IJLi2EEEENSI_IJLi4EEEENSI_IJLi3EEEEEEENS2_IJNSI_IJLi1ELi2EEEESN_SM_NSI_IJLi5ELi6EEEENSI_IJLi7EEEEEEENSI_IJLi5ELi7ELi6EEEElEESU_NS2_IJNS4_INS2_IJSA_SC_SC_EEENS2_IJSJ_SK_SL_EEENS2_IJSP_SN_SM_EEENSI_IJLi3ELi4EEEElEEEEESZ_NS_16tensor_operation12element_wise11PassThroughES13_12AlphaBetaAddLNS_25InMemoryDataOperationEnumE0ELi128ELi64ELi64ELi16ELi16ELi8ELi4ELi2ELi128ENSI_IJLi4ELi32ELi1EEEENSI_IJLi1ELi0ELi2EEEES17_Li2ELi8ELi8ELb0ELb1ELb1ES16_S17_S17_Li2ELi8ELi8ELb0ELb1ELb1ELi1ELi1ENSI_IJLi1ELi32ELi1ELi4EEEELi8ELi2ELNS_13LoopSchedulerE0ELNS_15PipelineVersionE0EEEaaNS2_IJPKaEEEaSU_SU_NS2_IJNS4_INS2_IJSA_SC_SC_NSD_INS2_IJiNS7_IiLi128EEEEEELb0EEENSD_INS2_IJiNS7_IiLi64EEEEEELb0EEEEEENS2_IJSJ_SK_SL_SN_SM_EEENS2_IJSP_SN_SM_SQ_NSI_IJLi7ELi8EEEEEEENSI_IJLi5ELi6ELi7ELi8EEEElEEEEES1Q_S13_S13_S14_NS_31BlockToCTileMap_M00_N0_M01AdaptILi128ELi64ESZ_iEELb0EEEvPKT0_PKT1_T2_PT3_T4_T5_T6_T7_T8_T9_T10_T11_,"axG",@progbits,_ZN2ck36kernel_gemm_mupltipe_d_wmma_cshuffleINS_26GridwiseGemmMultipleD_WmmaIaaiiNS_5TupleIJaEEEaNS_16TensorDescriptorINS2_IJNS_5EmbedINS2_IJiiEEENS2_IJiNS_17integral_constantIiLi1EEEEEELb0EEENS_11PassThroughIiEESC_NS_7UnMergeINS2_IJiNS7_IiLi8EEEEEELb0EEESC_EEENS2_IJNS_8SequenceIJLi0EEEENSI_IJLi1EEEENSI_IJLi2EEEENSI_IJLi4EEEENSI_IJLi3EEEEEEENS2_IJNSI_IJLi1ELi2EEEESN_SM_NSI_IJLi5ELi6EEEENSI_IJLi7EEEEEEENSI_IJLi5ELi7ELi6EEEElEESU_NS2_IJNS4_INS2_IJSA_SC_SC_EEENS2_IJSJ_SK_SL_EEENS2_IJSP_SN_SM_EEENSI_IJLi3ELi4EEEElEEEEESZ_NS_16tensor_operation12element_wise11PassThroughES13_12AlphaBetaAddLNS_25InMemoryDataOperationEnumE0ELi128ELi64ELi64ELi16ELi16ELi8ELi4ELi2ELi128ENSI_IJLi4ELi32ELi1EEEENSI_IJLi1ELi0ELi2EEEES17_Li2ELi8ELi8ELb0ELb1ELb1ES16_S17_S17_Li2ELi8ELi8ELb0ELb1ELb1ELi1ELi1ENSI_IJLi1ELi32ELi1ELi4EEEELi8ELi2ELNS_13LoopSchedulerE0ELNS_15PipelineVersionE0EEEaaNS2_IJPKaEEEaSU_SU_NS2_IJNS4_INS2_IJSA_SC_SC_NSD_INS2_IJiNS7_IiLi128EEEEEELb0EEENSD_INS2_IJiNS7_IiLi64EEEEEELb0EEEEEENS2_IJSJ_SK_SL_SN_SM_EEENS2_IJSP_SN_SM_SQ_NSI_IJLi7ELi8EEEEEEENSI_IJLi5ELi6ELi7ELi8EEEElEEEEES1Q_S13_S13_S14_NS_31BlockToCTileMap_M00_N0_M01AdaptILi128ELi64ESZ_iEELb0EEEvPKT0_PKT1_T2_PT3_T4_T5_T6_T7_T8_T9_T10_T11_,comdat
	.protected	_ZN2ck36kernel_gemm_mupltipe_d_wmma_cshuffleINS_26GridwiseGemmMultipleD_WmmaIaaiiNS_5TupleIJaEEEaNS_16TensorDescriptorINS2_IJNS_5EmbedINS2_IJiiEEENS2_IJiNS_17integral_constantIiLi1EEEEEELb0EEENS_11PassThroughIiEESC_NS_7UnMergeINS2_IJiNS7_IiLi8EEEEEELb0EEESC_EEENS2_IJNS_8SequenceIJLi0EEEENSI_IJLi1EEEENSI_IJLi2EEEENSI_IJLi4EEEENSI_IJLi3EEEEEEENS2_IJNSI_IJLi1ELi2EEEESN_SM_NSI_IJLi5ELi6EEEENSI_IJLi7EEEEEEENSI_IJLi5ELi7ELi6EEEElEESU_NS2_IJNS4_INS2_IJSA_SC_SC_EEENS2_IJSJ_SK_SL_EEENS2_IJSP_SN_SM_EEENSI_IJLi3ELi4EEEElEEEEESZ_NS_16tensor_operation12element_wise11PassThroughES13_12AlphaBetaAddLNS_25InMemoryDataOperationEnumE0ELi128ELi64ELi64ELi16ELi16ELi8ELi4ELi2ELi128ENSI_IJLi4ELi32ELi1EEEENSI_IJLi1ELi0ELi2EEEES17_Li2ELi8ELi8ELb0ELb1ELb1ES16_S17_S17_Li2ELi8ELi8ELb0ELb1ELb1ELi1ELi1ENSI_IJLi1ELi32ELi1ELi4EEEELi8ELi2ELNS_13LoopSchedulerE0ELNS_15PipelineVersionE0EEEaaNS2_IJPKaEEEaSU_SU_NS2_IJNS4_INS2_IJSA_SC_SC_NSD_INS2_IJiNS7_IiLi128EEEEEELb0EEENSD_INS2_IJiNS7_IiLi64EEEEEELb0EEEEEENS2_IJSJ_SK_SL_SN_SM_EEENS2_IJSP_SN_SM_SQ_NSI_IJLi7ELi8EEEEEEENSI_IJLi5ELi6ELi7ELi8EEEElEEEEES1Q_S13_S13_S14_NS_31BlockToCTileMap_M00_N0_M01AdaptILi128ELi64ESZ_iEELb0EEEvPKT0_PKT1_T2_PT3_T4_T5_T6_T7_T8_T9_T10_T11_ ; -- Begin function _ZN2ck36kernel_gemm_mupltipe_d_wmma_cshuffleINS_26GridwiseGemmMultipleD_WmmaIaaiiNS_5TupleIJaEEEaNS_16TensorDescriptorINS2_IJNS_5EmbedINS2_IJiiEEENS2_IJiNS_17integral_constantIiLi1EEEEEELb0EEENS_11PassThroughIiEESC_NS_7UnMergeINS2_IJiNS7_IiLi8EEEEEELb0EEESC_EEENS2_IJNS_8SequenceIJLi0EEEENSI_IJLi1EEEENSI_IJLi2EEEENSI_IJLi4EEEENSI_IJLi3EEEEEEENS2_IJNSI_IJLi1ELi2EEEESN_SM_NSI_IJLi5ELi6EEEENSI_IJLi7EEEEEEENSI_IJLi5ELi7ELi6EEEElEESU_NS2_IJNS4_INS2_IJSA_SC_SC_EEENS2_IJSJ_SK_SL_EEENS2_IJSP_SN_SM_EEENSI_IJLi3ELi4EEEElEEEEESZ_NS_16tensor_operation12element_wise11PassThroughES13_12AlphaBetaAddLNS_25InMemoryDataOperationEnumE0ELi128ELi64ELi64ELi16ELi16ELi8ELi4ELi2ELi128ENSI_IJLi4ELi32ELi1EEEENSI_IJLi1ELi0ELi2EEEES17_Li2ELi8ELi8ELb0ELb1ELb1ES16_S17_S17_Li2ELi8ELi8ELb0ELb1ELb1ELi1ELi1ENSI_IJLi1ELi32ELi1ELi4EEEELi8ELi2ELNS_13LoopSchedulerE0ELNS_15PipelineVersionE0EEEaaNS2_IJPKaEEEaSU_SU_NS2_IJNS4_INS2_IJSA_SC_SC_NSD_INS2_IJiNS7_IiLi128EEEEEELb0EEENSD_INS2_IJiNS7_IiLi64EEEEEELb0EEEEEENS2_IJSJ_SK_SL_SN_SM_EEENS2_IJSP_SN_SM_SQ_NSI_IJLi7ELi8EEEEEEENSI_IJLi5ELi6ELi7ELi8EEEElEEEEES1Q_S13_S13_S14_NS_31BlockToCTileMap_M00_N0_M01AdaptILi128ELi64ESZ_iEELb0EEEvPKT0_PKT1_T2_PT3_T4_T5_T6_T7_T8_T9_T10_T11_
	.globl	_ZN2ck36kernel_gemm_mupltipe_d_wmma_cshuffleINS_26GridwiseGemmMultipleD_WmmaIaaiiNS_5TupleIJaEEEaNS_16TensorDescriptorINS2_IJNS_5EmbedINS2_IJiiEEENS2_IJiNS_17integral_constantIiLi1EEEEEELb0EEENS_11PassThroughIiEESC_NS_7UnMergeINS2_IJiNS7_IiLi8EEEEEELb0EEESC_EEENS2_IJNS_8SequenceIJLi0EEEENSI_IJLi1EEEENSI_IJLi2EEEENSI_IJLi4EEEENSI_IJLi3EEEEEEENS2_IJNSI_IJLi1ELi2EEEESN_SM_NSI_IJLi5ELi6EEEENSI_IJLi7EEEEEEENSI_IJLi5ELi7ELi6EEEElEESU_NS2_IJNS4_INS2_IJSA_SC_SC_EEENS2_IJSJ_SK_SL_EEENS2_IJSP_SN_SM_EEENSI_IJLi3ELi4EEEElEEEEESZ_NS_16tensor_operation12element_wise11PassThroughES13_12AlphaBetaAddLNS_25InMemoryDataOperationEnumE0ELi128ELi64ELi64ELi16ELi16ELi8ELi4ELi2ELi128ENSI_IJLi4ELi32ELi1EEEENSI_IJLi1ELi0ELi2EEEES17_Li2ELi8ELi8ELb0ELb1ELb1ES16_S17_S17_Li2ELi8ELi8ELb0ELb1ELb1ELi1ELi1ENSI_IJLi1ELi32ELi1ELi4EEEELi8ELi2ELNS_13LoopSchedulerE0ELNS_15PipelineVersionE0EEEaaNS2_IJPKaEEEaSU_SU_NS2_IJNS4_INS2_IJSA_SC_SC_NSD_INS2_IJiNS7_IiLi128EEEEEELb0EEENSD_INS2_IJiNS7_IiLi64EEEEEELb0EEEEEENS2_IJSJ_SK_SL_SN_SM_EEENS2_IJSP_SN_SM_SQ_NSI_IJLi7ELi8EEEEEEENSI_IJLi5ELi6ELi7ELi8EEEElEEEEES1Q_S13_S13_S14_NS_31BlockToCTileMap_M00_N0_M01AdaptILi128ELi64ESZ_iEELb0EEEvPKT0_PKT1_T2_PT3_T4_T5_T6_T7_T8_T9_T10_T11_
	.p2align	8
	.type	_ZN2ck36kernel_gemm_mupltipe_d_wmma_cshuffleINS_26GridwiseGemmMultipleD_WmmaIaaiiNS_5TupleIJaEEEaNS_16TensorDescriptorINS2_IJNS_5EmbedINS2_IJiiEEENS2_IJiNS_17integral_constantIiLi1EEEEEELb0EEENS_11PassThroughIiEESC_NS_7UnMergeINS2_IJiNS7_IiLi8EEEEEELb0EEESC_EEENS2_IJNS_8SequenceIJLi0EEEENSI_IJLi1EEEENSI_IJLi2EEEENSI_IJLi4EEEENSI_IJLi3EEEEEEENS2_IJNSI_IJLi1ELi2EEEESN_SM_NSI_IJLi5ELi6EEEENSI_IJLi7EEEEEEENSI_IJLi5ELi7ELi6EEEElEESU_NS2_IJNS4_INS2_IJSA_SC_SC_EEENS2_IJSJ_SK_SL_EEENS2_IJSP_SN_SM_EEENSI_IJLi3ELi4EEEElEEEEESZ_NS_16tensor_operation12element_wise11PassThroughES13_12AlphaBetaAddLNS_25InMemoryDataOperationEnumE0ELi128ELi64ELi64ELi16ELi16ELi8ELi4ELi2ELi128ENSI_IJLi4ELi32ELi1EEEENSI_IJLi1ELi0ELi2EEEES17_Li2ELi8ELi8ELb0ELb1ELb1ES16_S17_S17_Li2ELi8ELi8ELb0ELb1ELb1ELi1ELi1ENSI_IJLi1ELi32ELi1ELi4EEEELi8ELi2ELNS_13LoopSchedulerE0ELNS_15PipelineVersionE0EEEaaNS2_IJPKaEEEaSU_SU_NS2_IJNS4_INS2_IJSA_SC_SC_NSD_INS2_IJiNS7_IiLi128EEEEEELb0EEENSD_INS2_IJiNS7_IiLi64EEEEEELb0EEEEEENS2_IJSJ_SK_SL_SN_SM_EEENS2_IJSP_SN_SM_SQ_NSI_IJLi7ELi8EEEEEEENSI_IJLi5ELi6ELi7ELi8EEEElEEEEES1Q_S13_S13_S14_NS_31BlockToCTileMap_M00_N0_M01AdaptILi128ELi64ESZ_iEELb0EEEvPKT0_PKT1_T2_PT3_T4_T5_T6_T7_T8_T9_T10_T11_,@function
_ZN2ck36kernel_gemm_mupltipe_d_wmma_cshuffleINS_26GridwiseGemmMultipleD_WmmaIaaiiNS_5TupleIJaEEEaNS_16TensorDescriptorINS2_IJNS_5EmbedINS2_IJiiEEENS2_IJiNS_17integral_constantIiLi1EEEEEELb0EEENS_11PassThroughIiEESC_NS_7UnMergeINS2_IJiNS7_IiLi8EEEEEELb0EEESC_EEENS2_IJNS_8SequenceIJLi0EEEENSI_IJLi1EEEENSI_IJLi2EEEENSI_IJLi4EEEENSI_IJLi3EEEEEEENS2_IJNSI_IJLi1ELi2EEEESN_SM_NSI_IJLi5ELi6EEEENSI_IJLi7EEEEEEENSI_IJLi5ELi7ELi6EEEElEESU_NS2_IJNS4_INS2_IJSA_SC_SC_EEENS2_IJSJ_SK_SL_EEENS2_IJSP_SN_SM_EEENSI_IJLi3ELi4EEEElEEEEESZ_NS_16tensor_operation12element_wise11PassThroughES13_12AlphaBetaAddLNS_25InMemoryDataOperationEnumE0ELi128ELi64ELi64ELi16ELi16ELi8ELi4ELi2ELi128ENSI_IJLi4ELi32ELi1EEEENSI_IJLi1ELi0ELi2EEEES17_Li2ELi8ELi8ELb0ELb1ELb1ES16_S17_S17_Li2ELi8ELi8ELb0ELb1ELb1ELi1ELi1ENSI_IJLi1ELi32ELi1ELi4EEEELi8ELi2ELNS_13LoopSchedulerE0ELNS_15PipelineVersionE0EEEaaNS2_IJPKaEEEaSU_SU_NS2_IJNS4_INS2_IJSA_SC_SC_NSD_INS2_IJiNS7_IiLi128EEEEEELb0EEENSD_INS2_IJiNS7_IiLi64EEEEEELb0EEEEEENS2_IJSJ_SK_SL_SN_SM_EEENS2_IJSP_SN_SM_SQ_NSI_IJLi7ELi8EEEEEEENSI_IJLi5ELi6ELi7ELi8EEEElEEEEES1Q_S13_S13_S14_NS_31BlockToCTileMap_M00_N0_M01AdaptILi128ELi64ESZ_iEELb0EEEvPKT0_PKT1_T2_PT3_T4_T5_T6_T7_T8_T9_T10_T11_: ; @_ZN2ck36kernel_gemm_mupltipe_d_wmma_cshuffleINS_26GridwiseGemmMultipleD_WmmaIaaiiNS_5TupleIJaEEEaNS_16TensorDescriptorINS2_IJNS_5EmbedINS2_IJiiEEENS2_IJiNS_17integral_constantIiLi1EEEEEELb0EEENS_11PassThroughIiEESC_NS_7UnMergeINS2_IJiNS7_IiLi8EEEEEELb0EEESC_EEENS2_IJNS_8SequenceIJLi0EEEENSI_IJLi1EEEENSI_IJLi2EEEENSI_IJLi4EEEENSI_IJLi3EEEEEEENS2_IJNSI_IJLi1ELi2EEEESN_SM_NSI_IJLi5ELi6EEEENSI_IJLi7EEEEEEENSI_IJLi5ELi7ELi6EEEElEESU_NS2_IJNS4_INS2_IJSA_SC_SC_EEENS2_IJSJ_SK_SL_EEENS2_IJSP_SN_SM_EEENSI_IJLi3ELi4EEEElEEEEESZ_NS_16tensor_operation12element_wise11PassThroughES13_12AlphaBetaAddLNS_25InMemoryDataOperationEnumE0ELi128ELi64ELi64ELi16ELi16ELi8ELi4ELi2ELi128ENSI_IJLi4ELi32ELi1EEEENSI_IJLi1ELi0ELi2EEEES17_Li2ELi8ELi8ELb0ELb1ELb1ES16_S17_S17_Li2ELi8ELi8ELb0ELb1ELb1ELi1ELi1ENSI_IJLi1ELi32ELi1ELi4EEEELi8ELi2ELNS_13LoopSchedulerE0ELNS_15PipelineVersionE0EEEaaNS2_IJPKaEEEaSU_SU_NS2_IJNS4_INS2_IJSA_SC_SC_NSD_INS2_IJiNS7_IiLi128EEEEEELb0EEENSD_INS2_IJiNS7_IiLi64EEEEEELb0EEEEEENS2_IJSJ_SK_SL_SN_SM_EEENS2_IJSP_SN_SM_SQ_NSI_IJLi7ELi8EEEEEEENSI_IJLi5ELi6ELi7ELi8EEEElEEEEES1Q_S13_S13_S14_NS_31BlockToCTileMap_M00_N0_M01AdaptILi128ELi64ESZ_iEELb0EEEvPKT0_PKT1_T2_PT3_T4_T5_T6_T7_T8_T9_T10_T11_
; %bb.0:
	s_endpgm
	.section	.rodata,"a",@progbits
	.p2align	6, 0x0
	.amdhsa_kernel _ZN2ck36kernel_gemm_mupltipe_d_wmma_cshuffleINS_26GridwiseGemmMultipleD_WmmaIaaiiNS_5TupleIJaEEEaNS_16TensorDescriptorINS2_IJNS_5EmbedINS2_IJiiEEENS2_IJiNS_17integral_constantIiLi1EEEEEELb0EEENS_11PassThroughIiEESC_NS_7UnMergeINS2_IJiNS7_IiLi8EEEEEELb0EEESC_EEENS2_IJNS_8SequenceIJLi0EEEENSI_IJLi1EEEENSI_IJLi2EEEENSI_IJLi4EEEENSI_IJLi3EEEEEEENS2_IJNSI_IJLi1ELi2EEEESN_SM_NSI_IJLi5ELi6EEEENSI_IJLi7EEEEEEENSI_IJLi5ELi7ELi6EEEElEESU_NS2_IJNS4_INS2_IJSA_SC_SC_EEENS2_IJSJ_SK_SL_EEENS2_IJSP_SN_SM_EEENSI_IJLi3ELi4EEEElEEEEESZ_NS_16tensor_operation12element_wise11PassThroughES13_12AlphaBetaAddLNS_25InMemoryDataOperationEnumE0ELi128ELi64ELi64ELi16ELi16ELi8ELi4ELi2ELi128ENSI_IJLi4ELi32ELi1EEEENSI_IJLi1ELi0ELi2EEEES17_Li2ELi8ELi8ELb0ELb1ELb1ES16_S17_S17_Li2ELi8ELi8ELb0ELb1ELb1ELi1ELi1ENSI_IJLi1ELi32ELi1ELi4EEEELi8ELi2ELNS_13LoopSchedulerE0ELNS_15PipelineVersionE0EEEaaNS2_IJPKaEEEaSU_SU_NS2_IJNS4_INS2_IJSA_SC_SC_NSD_INS2_IJiNS7_IiLi128EEEEEELb0EEENSD_INS2_IJiNS7_IiLi64EEEEEELb0EEEEEENS2_IJSJ_SK_SL_SN_SM_EEENS2_IJSP_SN_SM_SQ_NSI_IJLi7ELi8EEEEEEENSI_IJLi5ELi6ELi7ELi8EEEElEEEEES1Q_S13_S13_S14_NS_31BlockToCTileMap_M00_N0_M01AdaptILi128ELi64ESZ_iEELb0EEEvPKT0_PKT1_T2_PT3_T4_T5_T6_T7_T8_T9_T10_T11_
		.amdhsa_group_segment_fixed_size 0
		.amdhsa_private_segment_fixed_size 0
		.amdhsa_kernarg_size 296
		.amdhsa_user_sgpr_count 6
		.amdhsa_user_sgpr_private_segment_buffer 1
		.amdhsa_user_sgpr_dispatch_ptr 0
		.amdhsa_user_sgpr_queue_ptr 0
		.amdhsa_user_sgpr_kernarg_segment_ptr 1
		.amdhsa_user_sgpr_dispatch_id 0
		.amdhsa_user_sgpr_flat_scratch_init 0
		.amdhsa_user_sgpr_private_segment_size 0
		.amdhsa_uses_dynamic_stack 0
		.amdhsa_system_sgpr_private_segment_wavefront_offset 0
		.amdhsa_system_sgpr_workgroup_id_x 1
		.amdhsa_system_sgpr_workgroup_id_y 0
		.amdhsa_system_sgpr_workgroup_id_z 0
		.amdhsa_system_sgpr_workgroup_info 0
		.amdhsa_system_vgpr_workitem_id 0
		.amdhsa_next_free_vgpr 1
		.amdhsa_next_free_sgpr 0
		.amdhsa_reserve_vcc 0
		.amdhsa_reserve_flat_scratch 0
		.amdhsa_float_round_mode_32 0
		.amdhsa_float_round_mode_16_64 0
		.amdhsa_float_denorm_mode_32 3
		.amdhsa_float_denorm_mode_16_64 3
		.amdhsa_dx10_clamp 1
		.amdhsa_ieee_mode 1
		.amdhsa_fp16_overflow 0
		.amdhsa_exception_fp_ieee_invalid_op 0
		.amdhsa_exception_fp_denorm_src 0
		.amdhsa_exception_fp_ieee_div_zero 0
		.amdhsa_exception_fp_ieee_overflow 0
		.amdhsa_exception_fp_ieee_underflow 0
		.amdhsa_exception_fp_ieee_inexact 0
		.amdhsa_exception_int_div_zero 0
	.end_amdhsa_kernel
	.section	.text._ZN2ck36kernel_gemm_mupltipe_d_wmma_cshuffleINS_26GridwiseGemmMultipleD_WmmaIaaiiNS_5TupleIJaEEEaNS_16TensorDescriptorINS2_IJNS_5EmbedINS2_IJiiEEENS2_IJiNS_17integral_constantIiLi1EEEEEELb0EEENS_11PassThroughIiEESC_NS_7UnMergeINS2_IJiNS7_IiLi8EEEEEELb0EEESC_EEENS2_IJNS_8SequenceIJLi0EEEENSI_IJLi1EEEENSI_IJLi2EEEENSI_IJLi4EEEENSI_IJLi3EEEEEEENS2_IJNSI_IJLi1ELi2EEEESN_SM_NSI_IJLi5ELi6EEEENSI_IJLi7EEEEEEENSI_IJLi5ELi7ELi6EEEElEESU_NS2_IJNS4_INS2_IJSA_SC_SC_EEENS2_IJSJ_SK_SL_EEENS2_IJSP_SN_SM_EEENSI_IJLi3ELi4EEEElEEEEESZ_NS_16tensor_operation12element_wise11PassThroughES13_12AlphaBetaAddLNS_25InMemoryDataOperationEnumE0ELi128ELi64ELi64ELi16ELi16ELi8ELi4ELi2ELi128ENSI_IJLi4ELi32ELi1EEEENSI_IJLi1ELi0ELi2EEEES17_Li2ELi8ELi8ELb0ELb1ELb1ES16_S17_S17_Li2ELi8ELi8ELb0ELb1ELb1ELi1ELi1ENSI_IJLi1ELi32ELi1ELi4EEEELi8ELi2ELNS_13LoopSchedulerE0ELNS_15PipelineVersionE0EEEaaNS2_IJPKaEEEaSU_SU_NS2_IJNS4_INS2_IJSA_SC_SC_NSD_INS2_IJiNS7_IiLi128EEEEEELb0EEENSD_INS2_IJiNS7_IiLi64EEEEEELb0EEEEEENS2_IJSJ_SK_SL_SN_SM_EEENS2_IJSP_SN_SM_SQ_NSI_IJLi7ELi8EEEEEEENSI_IJLi5ELi6ELi7ELi8EEEElEEEEES1Q_S13_S13_S14_NS_31BlockToCTileMap_M00_N0_M01AdaptILi128ELi64ESZ_iEELb0EEEvPKT0_PKT1_T2_PT3_T4_T5_T6_T7_T8_T9_T10_T11_,"axG",@progbits,_ZN2ck36kernel_gemm_mupltipe_d_wmma_cshuffleINS_26GridwiseGemmMultipleD_WmmaIaaiiNS_5TupleIJaEEEaNS_16TensorDescriptorINS2_IJNS_5EmbedINS2_IJiiEEENS2_IJiNS_17integral_constantIiLi1EEEEEELb0EEENS_11PassThroughIiEESC_NS_7UnMergeINS2_IJiNS7_IiLi8EEEEEELb0EEESC_EEENS2_IJNS_8SequenceIJLi0EEEENSI_IJLi1EEEENSI_IJLi2EEEENSI_IJLi4EEEENSI_IJLi3EEEEEEENS2_IJNSI_IJLi1ELi2EEEESN_SM_NSI_IJLi5ELi6EEEENSI_IJLi7EEEEEEENSI_IJLi5ELi7ELi6EEEElEESU_NS2_IJNS4_INS2_IJSA_SC_SC_EEENS2_IJSJ_SK_SL_EEENS2_IJSP_SN_SM_EEENSI_IJLi3ELi4EEEElEEEEESZ_NS_16tensor_operation12element_wise11PassThroughES13_12AlphaBetaAddLNS_25InMemoryDataOperationEnumE0ELi128ELi64ELi64ELi16ELi16ELi8ELi4ELi2ELi128ENSI_IJLi4ELi32ELi1EEEENSI_IJLi1ELi0ELi2EEEES17_Li2ELi8ELi8ELb0ELb1ELb1ES16_S17_S17_Li2ELi8ELi8ELb0ELb1ELb1ELi1ELi1ENSI_IJLi1ELi32ELi1ELi4EEEELi8ELi2ELNS_13LoopSchedulerE0ELNS_15PipelineVersionE0EEEaaNS2_IJPKaEEEaSU_SU_NS2_IJNS4_INS2_IJSA_SC_SC_NSD_INS2_IJiNS7_IiLi128EEEEEELb0EEENSD_INS2_IJiNS7_IiLi64EEEEEELb0EEEEEENS2_IJSJ_SK_SL_SN_SM_EEENS2_IJSP_SN_SM_SQ_NSI_IJLi7ELi8EEEEEEENSI_IJLi5ELi6ELi7ELi8EEEElEEEEES1Q_S13_S13_S14_NS_31BlockToCTileMap_M00_N0_M01AdaptILi128ELi64ESZ_iEELb0EEEvPKT0_PKT1_T2_PT3_T4_T5_T6_T7_T8_T9_T10_T11_,comdat
.Lfunc_end2:
	.size	_ZN2ck36kernel_gemm_mupltipe_d_wmma_cshuffleINS_26GridwiseGemmMultipleD_WmmaIaaiiNS_5TupleIJaEEEaNS_16TensorDescriptorINS2_IJNS_5EmbedINS2_IJiiEEENS2_IJiNS_17integral_constantIiLi1EEEEEELb0EEENS_11PassThroughIiEESC_NS_7UnMergeINS2_IJiNS7_IiLi8EEEEEELb0EEESC_EEENS2_IJNS_8SequenceIJLi0EEEENSI_IJLi1EEEENSI_IJLi2EEEENSI_IJLi4EEEENSI_IJLi3EEEEEEENS2_IJNSI_IJLi1ELi2EEEESN_SM_NSI_IJLi5ELi6EEEENSI_IJLi7EEEEEEENSI_IJLi5ELi7ELi6EEEElEESU_NS2_IJNS4_INS2_IJSA_SC_SC_EEENS2_IJSJ_SK_SL_EEENS2_IJSP_SN_SM_EEENSI_IJLi3ELi4EEEElEEEEESZ_NS_16tensor_operation12element_wise11PassThroughES13_12AlphaBetaAddLNS_25InMemoryDataOperationEnumE0ELi128ELi64ELi64ELi16ELi16ELi8ELi4ELi2ELi128ENSI_IJLi4ELi32ELi1EEEENSI_IJLi1ELi0ELi2EEEES17_Li2ELi8ELi8ELb0ELb1ELb1ES16_S17_S17_Li2ELi8ELi8ELb0ELb1ELb1ELi1ELi1ENSI_IJLi1ELi32ELi1ELi4EEEELi8ELi2ELNS_13LoopSchedulerE0ELNS_15PipelineVersionE0EEEaaNS2_IJPKaEEEaSU_SU_NS2_IJNS4_INS2_IJSA_SC_SC_NSD_INS2_IJiNS7_IiLi128EEEEEELb0EEENSD_INS2_IJiNS7_IiLi64EEEEEELb0EEEEEENS2_IJSJ_SK_SL_SN_SM_EEENS2_IJSP_SN_SM_SQ_NSI_IJLi7ELi8EEEEEEENSI_IJLi5ELi6ELi7ELi8EEEElEEEEES1Q_S13_S13_S14_NS_31BlockToCTileMap_M00_N0_M01AdaptILi128ELi64ESZ_iEELb0EEEvPKT0_PKT1_T2_PT3_T4_T5_T6_T7_T8_T9_T10_T11_, .Lfunc_end2-_ZN2ck36kernel_gemm_mupltipe_d_wmma_cshuffleINS_26GridwiseGemmMultipleD_WmmaIaaiiNS_5TupleIJaEEEaNS_16TensorDescriptorINS2_IJNS_5EmbedINS2_IJiiEEENS2_IJiNS_17integral_constantIiLi1EEEEEELb0EEENS_11PassThroughIiEESC_NS_7UnMergeINS2_IJiNS7_IiLi8EEEEEELb0EEESC_EEENS2_IJNS_8SequenceIJLi0EEEENSI_IJLi1EEEENSI_IJLi2EEEENSI_IJLi4EEEENSI_IJLi3EEEEEEENS2_IJNSI_IJLi1ELi2EEEESN_SM_NSI_IJLi5ELi6EEEENSI_IJLi7EEEEEEENSI_IJLi5ELi7ELi6EEEElEESU_NS2_IJNS4_INS2_IJSA_SC_SC_EEENS2_IJSJ_SK_SL_EEENS2_IJSP_SN_SM_EEENSI_IJLi3ELi4EEEElEEEEESZ_NS_16tensor_operation12element_wise11PassThroughES13_12AlphaBetaAddLNS_25InMemoryDataOperationEnumE0ELi128ELi64ELi64ELi16ELi16ELi8ELi4ELi2ELi128ENSI_IJLi4ELi32ELi1EEEENSI_IJLi1ELi0ELi2EEEES17_Li2ELi8ELi8ELb0ELb1ELb1ES16_S17_S17_Li2ELi8ELi8ELb0ELb1ELb1ELi1ELi1ENSI_IJLi1ELi32ELi1ELi4EEEELi8ELi2ELNS_13LoopSchedulerE0ELNS_15PipelineVersionE0EEEaaNS2_IJPKaEEEaSU_SU_NS2_IJNS4_INS2_IJSA_SC_SC_NSD_INS2_IJiNS7_IiLi128EEEEEELb0EEENSD_INS2_IJiNS7_IiLi64EEEEEELb0EEEEEENS2_IJSJ_SK_SL_SN_SM_EEENS2_IJSP_SN_SM_SQ_NSI_IJLi7ELi8EEEEEEENSI_IJLi5ELi6ELi7ELi8EEEElEEEEES1Q_S13_S13_S14_NS_31BlockToCTileMap_M00_N0_M01AdaptILi128ELi64ESZ_iEELb0EEEvPKT0_PKT1_T2_PT3_T4_T5_T6_T7_T8_T9_T10_T11_
                                        ; -- End function
	.set _ZN2ck36kernel_gemm_mupltipe_d_wmma_cshuffleINS_26GridwiseGemmMultipleD_WmmaIaaiiNS_5TupleIJaEEEaNS_16TensorDescriptorINS2_IJNS_5EmbedINS2_IJiiEEENS2_IJiNS_17integral_constantIiLi1EEEEEELb0EEENS_11PassThroughIiEESC_NS_7UnMergeINS2_IJiNS7_IiLi8EEEEEELb0EEESC_EEENS2_IJNS_8SequenceIJLi0EEEENSI_IJLi1EEEENSI_IJLi2EEEENSI_IJLi4EEEENSI_IJLi3EEEEEEENS2_IJNSI_IJLi1ELi2EEEESN_SM_NSI_IJLi5ELi6EEEENSI_IJLi7EEEEEEENSI_IJLi5ELi7ELi6EEEElEESU_NS2_IJNS4_INS2_IJSA_SC_SC_EEENS2_IJSJ_SK_SL_EEENS2_IJSP_SN_SM_EEENSI_IJLi3ELi4EEEElEEEEESZ_NS_16tensor_operation12element_wise11PassThroughES13_12AlphaBetaAddLNS_25InMemoryDataOperationEnumE0ELi128ELi64ELi64ELi16ELi16ELi8ELi4ELi2ELi128ENSI_IJLi4ELi32ELi1EEEENSI_IJLi1ELi0ELi2EEEES17_Li2ELi8ELi8ELb0ELb1ELb1ES16_S17_S17_Li2ELi8ELi8ELb0ELb1ELb1ELi1ELi1ENSI_IJLi1ELi32ELi1ELi4EEEELi8ELi2ELNS_13LoopSchedulerE0ELNS_15PipelineVersionE0EEEaaNS2_IJPKaEEEaSU_SU_NS2_IJNS4_INS2_IJSA_SC_SC_NSD_INS2_IJiNS7_IiLi128EEEEEELb0EEENSD_INS2_IJiNS7_IiLi64EEEEEELb0EEEEEENS2_IJSJ_SK_SL_SN_SM_EEENS2_IJSP_SN_SM_SQ_NSI_IJLi7ELi8EEEEEEENSI_IJLi5ELi6ELi7ELi8EEEElEEEEES1Q_S13_S13_S14_NS_31BlockToCTileMap_M00_N0_M01AdaptILi128ELi64ESZ_iEELb0EEEvPKT0_PKT1_T2_PT3_T4_T5_T6_T7_T8_T9_T10_T11_.num_vgpr, 0
	.set _ZN2ck36kernel_gemm_mupltipe_d_wmma_cshuffleINS_26GridwiseGemmMultipleD_WmmaIaaiiNS_5TupleIJaEEEaNS_16TensorDescriptorINS2_IJNS_5EmbedINS2_IJiiEEENS2_IJiNS_17integral_constantIiLi1EEEEEELb0EEENS_11PassThroughIiEESC_NS_7UnMergeINS2_IJiNS7_IiLi8EEEEEELb0EEESC_EEENS2_IJNS_8SequenceIJLi0EEEENSI_IJLi1EEEENSI_IJLi2EEEENSI_IJLi4EEEENSI_IJLi3EEEEEEENS2_IJNSI_IJLi1ELi2EEEESN_SM_NSI_IJLi5ELi6EEEENSI_IJLi7EEEEEEENSI_IJLi5ELi7ELi6EEEElEESU_NS2_IJNS4_INS2_IJSA_SC_SC_EEENS2_IJSJ_SK_SL_EEENS2_IJSP_SN_SM_EEENSI_IJLi3ELi4EEEElEEEEESZ_NS_16tensor_operation12element_wise11PassThroughES13_12AlphaBetaAddLNS_25InMemoryDataOperationEnumE0ELi128ELi64ELi64ELi16ELi16ELi8ELi4ELi2ELi128ENSI_IJLi4ELi32ELi1EEEENSI_IJLi1ELi0ELi2EEEES17_Li2ELi8ELi8ELb0ELb1ELb1ES16_S17_S17_Li2ELi8ELi8ELb0ELb1ELb1ELi1ELi1ENSI_IJLi1ELi32ELi1ELi4EEEELi8ELi2ELNS_13LoopSchedulerE0ELNS_15PipelineVersionE0EEEaaNS2_IJPKaEEEaSU_SU_NS2_IJNS4_INS2_IJSA_SC_SC_NSD_INS2_IJiNS7_IiLi128EEEEEELb0EEENSD_INS2_IJiNS7_IiLi64EEEEEELb0EEEEEENS2_IJSJ_SK_SL_SN_SM_EEENS2_IJSP_SN_SM_SQ_NSI_IJLi7ELi8EEEEEEENSI_IJLi5ELi6ELi7ELi8EEEElEEEEES1Q_S13_S13_S14_NS_31BlockToCTileMap_M00_N0_M01AdaptILi128ELi64ESZ_iEELb0EEEvPKT0_PKT1_T2_PT3_T4_T5_T6_T7_T8_T9_T10_T11_.num_agpr, 0
	.set _ZN2ck36kernel_gemm_mupltipe_d_wmma_cshuffleINS_26GridwiseGemmMultipleD_WmmaIaaiiNS_5TupleIJaEEEaNS_16TensorDescriptorINS2_IJNS_5EmbedINS2_IJiiEEENS2_IJiNS_17integral_constantIiLi1EEEEEELb0EEENS_11PassThroughIiEESC_NS_7UnMergeINS2_IJiNS7_IiLi8EEEEEELb0EEESC_EEENS2_IJNS_8SequenceIJLi0EEEENSI_IJLi1EEEENSI_IJLi2EEEENSI_IJLi4EEEENSI_IJLi3EEEEEEENS2_IJNSI_IJLi1ELi2EEEESN_SM_NSI_IJLi5ELi6EEEENSI_IJLi7EEEEEEENSI_IJLi5ELi7ELi6EEEElEESU_NS2_IJNS4_INS2_IJSA_SC_SC_EEENS2_IJSJ_SK_SL_EEENS2_IJSP_SN_SM_EEENSI_IJLi3ELi4EEEElEEEEESZ_NS_16tensor_operation12element_wise11PassThroughES13_12AlphaBetaAddLNS_25InMemoryDataOperationEnumE0ELi128ELi64ELi64ELi16ELi16ELi8ELi4ELi2ELi128ENSI_IJLi4ELi32ELi1EEEENSI_IJLi1ELi0ELi2EEEES17_Li2ELi8ELi8ELb0ELb1ELb1ES16_S17_S17_Li2ELi8ELi8ELb0ELb1ELb1ELi1ELi1ENSI_IJLi1ELi32ELi1ELi4EEEELi8ELi2ELNS_13LoopSchedulerE0ELNS_15PipelineVersionE0EEEaaNS2_IJPKaEEEaSU_SU_NS2_IJNS4_INS2_IJSA_SC_SC_NSD_INS2_IJiNS7_IiLi128EEEEEELb0EEENSD_INS2_IJiNS7_IiLi64EEEEEELb0EEEEEENS2_IJSJ_SK_SL_SN_SM_EEENS2_IJSP_SN_SM_SQ_NSI_IJLi7ELi8EEEEEEENSI_IJLi5ELi6ELi7ELi8EEEElEEEEES1Q_S13_S13_S14_NS_31BlockToCTileMap_M00_N0_M01AdaptILi128ELi64ESZ_iEELb0EEEvPKT0_PKT1_T2_PT3_T4_T5_T6_T7_T8_T9_T10_T11_.numbered_sgpr, 0
	.set _ZN2ck36kernel_gemm_mupltipe_d_wmma_cshuffleINS_26GridwiseGemmMultipleD_WmmaIaaiiNS_5TupleIJaEEEaNS_16TensorDescriptorINS2_IJNS_5EmbedINS2_IJiiEEENS2_IJiNS_17integral_constantIiLi1EEEEEELb0EEENS_11PassThroughIiEESC_NS_7UnMergeINS2_IJiNS7_IiLi8EEEEEELb0EEESC_EEENS2_IJNS_8SequenceIJLi0EEEENSI_IJLi1EEEENSI_IJLi2EEEENSI_IJLi4EEEENSI_IJLi3EEEEEEENS2_IJNSI_IJLi1ELi2EEEESN_SM_NSI_IJLi5ELi6EEEENSI_IJLi7EEEEEEENSI_IJLi5ELi7ELi6EEEElEESU_NS2_IJNS4_INS2_IJSA_SC_SC_EEENS2_IJSJ_SK_SL_EEENS2_IJSP_SN_SM_EEENSI_IJLi3ELi4EEEElEEEEESZ_NS_16tensor_operation12element_wise11PassThroughES13_12AlphaBetaAddLNS_25InMemoryDataOperationEnumE0ELi128ELi64ELi64ELi16ELi16ELi8ELi4ELi2ELi128ENSI_IJLi4ELi32ELi1EEEENSI_IJLi1ELi0ELi2EEEES17_Li2ELi8ELi8ELb0ELb1ELb1ES16_S17_S17_Li2ELi8ELi8ELb0ELb1ELb1ELi1ELi1ENSI_IJLi1ELi32ELi1ELi4EEEELi8ELi2ELNS_13LoopSchedulerE0ELNS_15PipelineVersionE0EEEaaNS2_IJPKaEEEaSU_SU_NS2_IJNS4_INS2_IJSA_SC_SC_NSD_INS2_IJiNS7_IiLi128EEEEEELb0EEENSD_INS2_IJiNS7_IiLi64EEEEEELb0EEEEEENS2_IJSJ_SK_SL_SN_SM_EEENS2_IJSP_SN_SM_SQ_NSI_IJLi7ELi8EEEEEEENSI_IJLi5ELi6ELi7ELi8EEEElEEEEES1Q_S13_S13_S14_NS_31BlockToCTileMap_M00_N0_M01AdaptILi128ELi64ESZ_iEELb0EEEvPKT0_PKT1_T2_PT3_T4_T5_T6_T7_T8_T9_T10_T11_.num_named_barrier, 0
	.set _ZN2ck36kernel_gemm_mupltipe_d_wmma_cshuffleINS_26GridwiseGemmMultipleD_WmmaIaaiiNS_5TupleIJaEEEaNS_16TensorDescriptorINS2_IJNS_5EmbedINS2_IJiiEEENS2_IJiNS_17integral_constantIiLi1EEEEEELb0EEENS_11PassThroughIiEESC_NS_7UnMergeINS2_IJiNS7_IiLi8EEEEEELb0EEESC_EEENS2_IJNS_8SequenceIJLi0EEEENSI_IJLi1EEEENSI_IJLi2EEEENSI_IJLi4EEEENSI_IJLi3EEEEEEENS2_IJNSI_IJLi1ELi2EEEESN_SM_NSI_IJLi5ELi6EEEENSI_IJLi7EEEEEEENSI_IJLi5ELi7ELi6EEEElEESU_NS2_IJNS4_INS2_IJSA_SC_SC_EEENS2_IJSJ_SK_SL_EEENS2_IJSP_SN_SM_EEENSI_IJLi3ELi4EEEElEEEEESZ_NS_16tensor_operation12element_wise11PassThroughES13_12AlphaBetaAddLNS_25InMemoryDataOperationEnumE0ELi128ELi64ELi64ELi16ELi16ELi8ELi4ELi2ELi128ENSI_IJLi4ELi32ELi1EEEENSI_IJLi1ELi0ELi2EEEES17_Li2ELi8ELi8ELb0ELb1ELb1ES16_S17_S17_Li2ELi8ELi8ELb0ELb1ELb1ELi1ELi1ENSI_IJLi1ELi32ELi1ELi4EEEELi8ELi2ELNS_13LoopSchedulerE0ELNS_15PipelineVersionE0EEEaaNS2_IJPKaEEEaSU_SU_NS2_IJNS4_INS2_IJSA_SC_SC_NSD_INS2_IJiNS7_IiLi128EEEEEELb0EEENSD_INS2_IJiNS7_IiLi64EEEEEELb0EEEEEENS2_IJSJ_SK_SL_SN_SM_EEENS2_IJSP_SN_SM_SQ_NSI_IJLi7ELi8EEEEEEENSI_IJLi5ELi6ELi7ELi8EEEElEEEEES1Q_S13_S13_S14_NS_31BlockToCTileMap_M00_N0_M01AdaptILi128ELi64ESZ_iEELb0EEEvPKT0_PKT1_T2_PT3_T4_T5_T6_T7_T8_T9_T10_T11_.private_seg_size, 0
	.set _ZN2ck36kernel_gemm_mupltipe_d_wmma_cshuffleINS_26GridwiseGemmMultipleD_WmmaIaaiiNS_5TupleIJaEEEaNS_16TensorDescriptorINS2_IJNS_5EmbedINS2_IJiiEEENS2_IJiNS_17integral_constantIiLi1EEEEEELb0EEENS_11PassThroughIiEESC_NS_7UnMergeINS2_IJiNS7_IiLi8EEEEEELb0EEESC_EEENS2_IJNS_8SequenceIJLi0EEEENSI_IJLi1EEEENSI_IJLi2EEEENSI_IJLi4EEEENSI_IJLi3EEEEEEENS2_IJNSI_IJLi1ELi2EEEESN_SM_NSI_IJLi5ELi6EEEENSI_IJLi7EEEEEEENSI_IJLi5ELi7ELi6EEEElEESU_NS2_IJNS4_INS2_IJSA_SC_SC_EEENS2_IJSJ_SK_SL_EEENS2_IJSP_SN_SM_EEENSI_IJLi3ELi4EEEElEEEEESZ_NS_16tensor_operation12element_wise11PassThroughES13_12AlphaBetaAddLNS_25InMemoryDataOperationEnumE0ELi128ELi64ELi64ELi16ELi16ELi8ELi4ELi2ELi128ENSI_IJLi4ELi32ELi1EEEENSI_IJLi1ELi0ELi2EEEES17_Li2ELi8ELi8ELb0ELb1ELb1ES16_S17_S17_Li2ELi8ELi8ELb0ELb1ELb1ELi1ELi1ENSI_IJLi1ELi32ELi1ELi4EEEELi8ELi2ELNS_13LoopSchedulerE0ELNS_15PipelineVersionE0EEEaaNS2_IJPKaEEEaSU_SU_NS2_IJNS4_INS2_IJSA_SC_SC_NSD_INS2_IJiNS7_IiLi128EEEEEELb0EEENSD_INS2_IJiNS7_IiLi64EEEEEELb0EEEEEENS2_IJSJ_SK_SL_SN_SM_EEENS2_IJSP_SN_SM_SQ_NSI_IJLi7ELi8EEEEEEENSI_IJLi5ELi6ELi7ELi8EEEElEEEEES1Q_S13_S13_S14_NS_31BlockToCTileMap_M00_N0_M01AdaptILi128ELi64ESZ_iEELb0EEEvPKT0_PKT1_T2_PT3_T4_T5_T6_T7_T8_T9_T10_T11_.uses_vcc, 0
	.set _ZN2ck36kernel_gemm_mupltipe_d_wmma_cshuffleINS_26GridwiseGemmMultipleD_WmmaIaaiiNS_5TupleIJaEEEaNS_16TensorDescriptorINS2_IJNS_5EmbedINS2_IJiiEEENS2_IJiNS_17integral_constantIiLi1EEEEEELb0EEENS_11PassThroughIiEESC_NS_7UnMergeINS2_IJiNS7_IiLi8EEEEEELb0EEESC_EEENS2_IJNS_8SequenceIJLi0EEEENSI_IJLi1EEEENSI_IJLi2EEEENSI_IJLi4EEEENSI_IJLi3EEEEEEENS2_IJNSI_IJLi1ELi2EEEESN_SM_NSI_IJLi5ELi6EEEENSI_IJLi7EEEEEEENSI_IJLi5ELi7ELi6EEEElEESU_NS2_IJNS4_INS2_IJSA_SC_SC_EEENS2_IJSJ_SK_SL_EEENS2_IJSP_SN_SM_EEENSI_IJLi3ELi4EEEElEEEEESZ_NS_16tensor_operation12element_wise11PassThroughES13_12AlphaBetaAddLNS_25InMemoryDataOperationEnumE0ELi128ELi64ELi64ELi16ELi16ELi8ELi4ELi2ELi128ENSI_IJLi4ELi32ELi1EEEENSI_IJLi1ELi0ELi2EEEES17_Li2ELi8ELi8ELb0ELb1ELb1ES16_S17_S17_Li2ELi8ELi8ELb0ELb1ELb1ELi1ELi1ENSI_IJLi1ELi32ELi1ELi4EEEELi8ELi2ELNS_13LoopSchedulerE0ELNS_15PipelineVersionE0EEEaaNS2_IJPKaEEEaSU_SU_NS2_IJNS4_INS2_IJSA_SC_SC_NSD_INS2_IJiNS7_IiLi128EEEEEELb0EEENSD_INS2_IJiNS7_IiLi64EEEEEELb0EEEEEENS2_IJSJ_SK_SL_SN_SM_EEENS2_IJSP_SN_SM_SQ_NSI_IJLi7ELi8EEEEEEENSI_IJLi5ELi6ELi7ELi8EEEElEEEEES1Q_S13_S13_S14_NS_31BlockToCTileMap_M00_N0_M01AdaptILi128ELi64ESZ_iEELb0EEEvPKT0_PKT1_T2_PT3_T4_T5_T6_T7_T8_T9_T10_T11_.uses_flat_scratch, 0
	.set _ZN2ck36kernel_gemm_mupltipe_d_wmma_cshuffleINS_26GridwiseGemmMultipleD_WmmaIaaiiNS_5TupleIJaEEEaNS_16TensorDescriptorINS2_IJNS_5EmbedINS2_IJiiEEENS2_IJiNS_17integral_constantIiLi1EEEEEELb0EEENS_11PassThroughIiEESC_NS_7UnMergeINS2_IJiNS7_IiLi8EEEEEELb0EEESC_EEENS2_IJNS_8SequenceIJLi0EEEENSI_IJLi1EEEENSI_IJLi2EEEENSI_IJLi4EEEENSI_IJLi3EEEEEEENS2_IJNSI_IJLi1ELi2EEEESN_SM_NSI_IJLi5ELi6EEEENSI_IJLi7EEEEEEENSI_IJLi5ELi7ELi6EEEElEESU_NS2_IJNS4_INS2_IJSA_SC_SC_EEENS2_IJSJ_SK_SL_EEENS2_IJSP_SN_SM_EEENSI_IJLi3ELi4EEEElEEEEESZ_NS_16tensor_operation12element_wise11PassThroughES13_12AlphaBetaAddLNS_25InMemoryDataOperationEnumE0ELi128ELi64ELi64ELi16ELi16ELi8ELi4ELi2ELi128ENSI_IJLi4ELi32ELi1EEEENSI_IJLi1ELi0ELi2EEEES17_Li2ELi8ELi8ELb0ELb1ELb1ES16_S17_S17_Li2ELi8ELi8ELb0ELb1ELb1ELi1ELi1ENSI_IJLi1ELi32ELi1ELi4EEEELi8ELi2ELNS_13LoopSchedulerE0ELNS_15PipelineVersionE0EEEaaNS2_IJPKaEEEaSU_SU_NS2_IJNS4_INS2_IJSA_SC_SC_NSD_INS2_IJiNS7_IiLi128EEEEEELb0EEENSD_INS2_IJiNS7_IiLi64EEEEEELb0EEEEEENS2_IJSJ_SK_SL_SN_SM_EEENS2_IJSP_SN_SM_SQ_NSI_IJLi7ELi8EEEEEEENSI_IJLi5ELi6ELi7ELi8EEEElEEEEES1Q_S13_S13_S14_NS_31BlockToCTileMap_M00_N0_M01AdaptILi128ELi64ESZ_iEELb0EEEvPKT0_PKT1_T2_PT3_T4_T5_T6_T7_T8_T9_T10_T11_.has_dyn_sized_stack, 0
	.set _ZN2ck36kernel_gemm_mupltipe_d_wmma_cshuffleINS_26GridwiseGemmMultipleD_WmmaIaaiiNS_5TupleIJaEEEaNS_16TensorDescriptorINS2_IJNS_5EmbedINS2_IJiiEEENS2_IJiNS_17integral_constantIiLi1EEEEEELb0EEENS_11PassThroughIiEESC_NS_7UnMergeINS2_IJiNS7_IiLi8EEEEEELb0EEESC_EEENS2_IJNS_8SequenceIJLi0EEEENSI_IJLi1EEEENSI_IJLi2EEEENSI_IJLi4EEEENSI_IJLi3EEEEEEENS2_IJNSI_IJLi1ELi2EEEESN_SM_NSI_IJLi5ELi6EEEENSI_IJLi7EEEEEEENSI_IJLi5ELi7ELi6EEEElEESU_NS2_IJNS4_INS2_IJSA_SC_SC_EEENS2_IJSJ_SK_SL_EEENS2_IJSP_SN_SM_EEENSI_IJLi3ELi4EEEElEEEEESZ_NS_16tensor_operation12element_wise11PassThroughES13_12AlphaBetaAddLNS_25InMemoryDataOperationEnumE0ELi128ELi64ELi64ELi16ELi16ELi8ELi4ELi2ELi128ENSI_IJLi4ELi32ELi1EEEENSI_IJLi1ELi0ELi2EEEES17_Li2ELi8ELi8ELb0ELb1ELb1ES16_S17_S17_Li2ELi8ELi8ELb0ELb1ELb1ELi1ELi1ENSI_IJLi1ELi32ELi1ELi4EEEELi8ELi2ELNS_13LoopSchedulerE0ELNS_15PipelineVersionE0EEEaaNS2_IJPKaEEEaSU_SU_NS2_IJNS4_INS2_IJSA_SC_SC_NSD_INS2_IJiNS7_IiLi128EEEEEELb0EEENSD_INS2_IJiNS7_IiLi64EEEEEELb0EEEEEENS2_IJSJ_SK_SL_SN_SM_EEENS2_IJSP_SN_SM_SQ_NSI_IJLi7ELi8EEEEEEENSI_IJLi5ELi6ELi7ELi8EEEElEEEEES1Q_S13_S13_S14_NS_31BlockToCTileMap_M00_N0_M01AdaptILi128ELi64ESZ_iEELb0EEEvPKT0_PKT1_T2_PT3_T4_T5_T6_T7_T8_T9_T10_T11_.has_recursion, 0
	.set _ZN2ck36kernel_gemm_mupltipe_d_wmma_cshuffleINS_26GridwiseGemmMultipleD_WmmaIaaiiNS_5TupleIJaEEEaNS_16TensorDescriptorINS2_IJNS_5EmbedINS2_IJiiEEENS2_IJiNS_17integral_constantIiLi1EEEEEELb0EEENS_11PassThroughIiEESC_NS_7UnMergeINS2_IJiNS7_IiLi8EEEEEELb0EEESC_EEENS2_IJNS_8SequenceIJLi0EEEENSI_IJLi1EEEENSI_IJLi2EEEENSI_IJLi4EEEENSI_IJLi3EEEEEEENS2_IJNSI_IJLi1ELi2EEEESN_SM_NSI_IJLi5ELi6EEEENSI_IJLi7EEEEEEENSI_IJLi5ELi7ELi6EEEElEESU_NS2_IJNS4_INS2_IJSA_SC_SC_EEENS2_IJSJ_SK_SL_EEENS2_IJSP_SN_SM_EEENSI_IJLi3ELi4EEEElEEEEESZ_NS_16tensor_operation12element_wise11PassThroughES13_12AlphaBetaAddLNS_25InMemoryDataOperationEnumE0ELi128ELi64ELi64ELi16ELi16ELi8ELi4ELi2ELi128ENSI_IJLi4ELi32ELi1EEEENSI_IJLi1ELi0ELi2EEEES17_Li2ELi8ELi8ELb0ELb1ELb1ES16_S17_S17_Li2ELi8ELi8ELb0ELb1ELb1ELi1ELi1ENSI_IJLi1ELi32ELi1ELi4EEEELi8ELi2ELNS_13LoopSchedulerE0ELNS_15PipelineVersionE0EEEaaNS2_IJPKaEEEaSU_SU_NS2_IJNS4_INS2_IJSA_SC_SC_NSD_INS2_IJiNS7_IiLi128EEEEEELb0EEENSD_INS2_IJiNS7_IiLi64EEEEEELb0EEEEEENS2_IJSJ_SK_SL_SN_SM_EEENS2_IJSP_SN_SM_SQ_NSI_IJLi7ELi8EEEEEEENSI_IJLi5ELi6ELi7ELi8EEEElEEEEES1Q_S13_S13_S14_NS_31BlockToCTileMap_M00_N0_M01AdaptILi128ELi64ESZ_iEELb0EEEvPKT0_PKT1_T2_PT3_T4_T5_T6_T7_T8_T9_T10_T11_.has_indirect_call, 0
	.section	.AMDGPU.csdata,"",@progbits
; Kernel info:
; codeLenInByte = 4
; TotalNumSgprs: 4
; NumVgprs: 0
; ScratchSize: 0
; MemoryBound: 0
; FloatMode: 240
; IeeeMode: 1
; LDSByteSize: 0 bytes/workgroup (compile time only)
; SGPRBlocks: 0
; VGPRBlocks: 0
; NumSGPRsForWavesPerEU: 4
; NumVGPRsForWavesPerEU: 1
; Occupancy: 10
; WaveLimiterHint : 0
; COMPUTE_PGM_RSRC2:SCRATCH_EN: 0
; COMPUTE_PGM_RSRC2:USER_SGPR: 6
; COMPUTE_PGM_RSRC2:TRAP_HANDLER: 0
; COMPUTE_PGM_RSRC2:TGID_X_EN: 1
; COMPUTE_PGM_RSRC2:TGID_Y_EN: 0
; COMPUTE_PGM_RSRC2:TGID_Z_EN: 0
; COMPUTE_PGM_RSRC2:TIDIG_COMP_CNT: 0
	.section	.AMDGPU.gpr_maximums,"",@progbits
	.set amdgpu.max_num_vgpr, 0
	.set amdgpu.max_num_agpr, 0
	.set amdgpu.max_num_sgpr, 0
	.section	.AMDGPU.csdata,"",@progbits
	.type	__hip_cuid_d436a34651e60784,@object ; @__hip_cuid_d436a34651e60784
	.section	.bss,"aw",@nobits
	.globl	__hip_cuid_d436a34651e60784
__hip_cuid_d436a34651e60784:
	.byte	0                               ; 0x0
	.size	__hip_cuid_d436a34651e60784, 1

	.ident	"AMD clang version 22.0.0git (https://github.com/RadeonOpenCompute/llvm-project roc-7.2.4 26084 f58b06dce1f9c15707c5f808fd002e18c2accf7e)"
	.section	".note.GNU-stack","",@progbits
	.addrsig
	.addrsig_sym __hip_cuid_d436a34651e60784
	.amdgpu_metadata
---
amdhsa.kernels:
  - .args:           []
    .group_segment_fixed_size: 0
    .kernarg_segment_align: 4
    .kernarg_segment_size: 0
    .language:       OpenCL C
    .language_version:
      - 2
      - 0
    .max_flat_workgroup_size: 1024
    .name:           _ZN2ckL12flush_icacheEv
    .private_segment_fixed_size: 0
    .sgpr_count:     4
    .sgpr_spill_count: 0
    .symbol:         _ZN2ckL12flush_icacheEv.kd
    .uniform_work_group_size: 1
    .uses_dynamic_stack: false
    .vgpr_count:     0
    .vgpr_spill_count: 0
    .wavefront_size: 64
  - .args:
      - .actual_access:  read_only
        .address_space:  global
        .offset:         0
        .size:           8
        .value_kind:     global_buffer
      - .actual_access:  read_only
        .address_space:  global
        .offset:         8
        .size:           8
        .value_kind:     global_buffer
      - .address_space:  global
        .offset:         16
        .size:           8
        .value_kind:     global_buffer
      - .actual_access:  read_only
        .address_space:  global
        .offset:         24
        .size:           8
        .value_kind:     global_buffer
      - .offset:         32
        .size:           56
        .value_kind:     by_value
      - .offset:         88
        .size:           56
        .value_kind:     by_value
      - .offset:         144
        .size:           64
        .value_kind:     by_value
      - .offset:         208
        .size:           64
        .value_kind:     by_value
      - .offset:         272
        .size:           1
        .value_kind:     by_value
      - .offset:         273
        .size:           1
        .value_kind:     by_value
      - .offset:         276
        .size:           8
        .value_kind:     by_value
      - .offset:         284
        .size:           12
        .value_kind:     by_value
    .group_segment_fixed_size: 0
    .kernarg_segment_align: 8
    .kernarg_segment_size: 296
    .language:       OpenCL C
    .language_version:
      - 2
      - 0
    .max_flat_workgroup_size: 256
    .name:           _ZN2ck36kernel_gemm_mupltipe_d_wmma_cshuffleINS_26GridwiseGemmMultipleD_WmmaIaaiiNS_5TupleIJaEEEaNS_16TensorDescriptorINS2_IJNS_5EmbedINS2_IJiiEEENS2_IJiNS_17integral_constantIiLi1EEEEEELb0EEENS_11PassThroughIiEESC_NS_7UnMergeINS2_IJiNS7_IiLi8EEEEEELb0EEESC_EEENS2_IJNS_8SequenceIJLi0EEEENSI_IJLi1EEEENSI_IJLi2EEEENSI_IJLi4EEEENSI_IJLi3EEEEEEENS2_IJNSI_IJLi1ELi2EEEESN_SM_NSI_IJLi5ELi6EEEENSI_IJLi7EEEEEEENSI_IJLi5ELi7ELi6EEEElEESU_NS2_IJNS4_INS2_IJSA_SC_SC_EEENS2_IJSJ_SK_SL_EEENS2_IJSP_SN_SM_EEENSI_IJLi3ELi4EEEElEEEEESZ_NS_16tensor_operation12element_wise11PassThroughES13_12AlphaBetaAddLNS_25InMemoryDataOperationEnumE0ELi128ELi64ELi64ELi16ELi16ELi8ELi4ELi2ELi128ENSI_IJLi4ELi32ELi1EEEENSI_IJLi1ELi0ELi2EEEES17_Li2ELi8ELi8ELb0ELb1ELb1ES16_S17_S17_Li2ELi8ELi8ELb0ELb1ELb1ELi1ELi1ENSI_IJLi1ELi32ELi1ELi4EEEELi8ELi2ELNS_13LoopSchedulerE0ELNS_15PipelineVersionE0EEEaaNS2_IJPKaEEEaSU_SU_NS2_IJNS4_INS2_IJSA_SC_SC_NSD_INS2_IJiNS7_IiLi128EEEEEELb0EEENSD_INS2_IJiNS7_IiLi64EEEEEELb0EEEEEENS2_IJSJ_SK_SL_SN_SM_EEENS2_IJSP_SN_SM_SQ_NSI_IJLi7ELi8EEEEEEENSI_IJLi5ELi6ELi7ELi8EEEElEEEEES1Q_S13_S13_S14_NS_31BlockToCTileMap_M00_N0_M01AdaptILi128ELi64ESZ_iEELb1EEEvPKT0_PKT1_T2_PT3_T4_T5_T6_T7_T8_T9_T10_T11_
    .private_segment_fixed_size: 0
    .sgpr_count:     4
    .sgpr_spill_count: 0
    .symbol:         _ZN2ck36kernel_gemm_mupltipe_d_wmma_cshuffleINS_26GridwiseGemmMultipleD_WmmaIaaiiNS_5TupleIJaEEEaNS_16TensorDescriptorINS2_IJNS_5EmbedINS2_IJiiEEENS2_IJiNS_17integral_constantIiLi1EEEEEELb0EEENS_11PassThroughIiEESC_NS_7UnMergeINS2_IJiNS7_IiLi8EEEEEELb0EEESC_EEENS2_IJNS_8SequenceIJLi0EEEENSI_IJLi1EEEENSI_IJLi2EEEENSI_IJLi4EEEENSI_IJLi3EEEEEEENS2_IJNSI_IJLi1ELi2EEEESN_SM_NSI_IJLi5ELi6EEEENSI_IJLi7EEEEEEENSI_IJLi5ELi7ELi6EEEElEESU_NS2_IJNS4_INS2_IJSA_SC_SC_EEENS2_IJSJ_SK_SL_EEENS2_IJSP_SN_SM_EEENSI_IJLi3ELi4EEEElEEEEESZ_NS_16tensor_operation12element_wise11PassThroughES13_12AlphaBetaAddLNS_25InMemoryDataOperationEnumE0ELi128ELi64ELi64ELi16ELi16ELi8ELi4ELi2ELi128ENSI_IJLi4ELi32ELi1EEEENSI_IJLi1ELi0ELi2EEEES17_Li2ELi8ELi8ELb0ELb1ELb1ES16_S17_S17_Li2ELi8ELi8ELb0ELb1ELb1ELi1ELi1ENSI_IJLi1ELi32ELi1ELi4EEEELi8ELi2ELNS_13LoopSchedulerE0ELNS_15PipelineVersionE0EEEaaNS2_IJPKaEEEaSU_SU_NS2_IJNS4_INS2_IJSA_SC_SC_NSD_INS2_IJiNS7_IiLi128EEEEEELb0EEENSD_INS2_IJiNS7_IiLi64EEEEEELb0EEEEEENS2_IJSJ_SK_SL_SN_SM_EEENS2_IJSP_SN_SM_SQ_NSI_IJLi7ELi8EEEEEEENSI_IJLi5ELi6ELi7ELi8EEEElEEEEES1Q_S13_S13_S14_NS_31BlockToCTileMap_M00_N0_M01AdaptILi128ELi64ESZ_iEELb1EEEvPKT0_PKT1_T2_PT3_T4_T5_T6_T7_T8_T9_T10_T11_.kd
    .uniform_work_group_size: 1
    .uses_dynamic_stack: false
    .vgpr_count:     0
    .vgpr_spill_count: 0
    .wavefront_size: 64
  - .args:
      - .actual_access:  read_only
        .address_space:  global
        .offset:         0
        .size:           8
        .value_kind:     global_buffer
      - .actual_access:  read_only
        .address_space:  global
        .offset:         8
        .size:           8
        .value_kind:     global_buffer
      - .address_space:  global
        .offset:         16
        .size:           8
        .value_kind:     global_buffer
      - .actual_access:  read_only
        .address_space:  global
        .offset:         24
        .size:           8
        .value_kind:     global_buffer
      - .offset:         32
        .size:           56
        .value_kind:     by_value
      - .offset:         88
        .size:           56
        .value_kind:     by_value
      - .offset:         144
        .size:           64
        .value_kind:     by_value
      - .offset:         208
        .size:           64
        .value_kind:     by_value
      - .offset:         272
        .size:           1
        .value_kind:     by_value
      - .offset:         273
        .size:           1
        .value_kind:     by_value
      - .offset:         276
        .size:           8
        .value_kind:     by_value
      - .offset:         284
        .size:           12
        .value_kind:     by_value
    .group_segment_fixed_size: 0
    .kernarg_segment_align: 8
    .kernarg_segment_size: 296
    .language:       OpenCL C
    .language_version:
      - 2
      - 0
    .max_flat_workgroup_size: 256
    .name:           _ZN2ck36kernel_gemm_mupltipe_d_wmma_cshuffleINS_26GridwiseGemmMultipleD_WmmaIaaiiNS_5TupleIJaEEEaNS_16TensorDescriptorINS2_IJNS_5EmbedINS2_IJiiEEENS2_IJiNS_17integral_constantIiLi1EEEEEELb0EEENS_11PassThroughIiEESC_NS_7UnMergeINS2_IJiNS7_IiLi8EEEEEELb0EEESC_EEENS2_IJNS_8SequenceIJLi0EEEENSI_IJLi1EEEENSI_IJLi2EEEENSI_IJLi4EEEENSI_IJLi3EEEEEEENS2_IJNSI_IJLi1ELi2EEEESN_SM_NSI_IJLi5ELi6EEEENSI_IJLi7EEEEEEENSI_IJLi5ELi7ELi6EEEElEESU_NS2_IJNS4_INS2_IJSA_SC_SC_EEENS2_IJSJ_SK_SL_EEENS2_IJSP_SN_SM_EEENSI_IJLi3ELi4EEEElEEEEESZ_NS_16tensor_operation12element_wise11PassThroughES13_12AlphaBetaAddLNS_25InMemoryDataOperationEnumE0ELi128ELi64ELi64ELi16ELi16ELi8ELi4ELi2ELi128ENSI_IJLi4ELi32ELi1EEEENSI_IJLi1ELi0ELi2EEEES17_Li2ELi8ELi8ELb0ELb1ELb1ES16_S17_S17_Li2ELi8ELi8ELb0ELb1ELb1ELi1ELi1ENSI_IJLi1ELi32ELi1ELi4EEEELi8ELi2ELNS_13LoopSchedulerE0ELNS_15PipelineVersionE0EEEaaNS2_IJPKaEEEaSU_SU_NS2_IJNS4_INS2_IJSA_SC_SC_NSD_INS2_IJiNS7_IiLi128EEEEEELb0EEENSD_INS2_IJiNS7_IiLi64EEEEEELb0EEEEEENS2_IJSJ_SK_SL_SN_SM_EEENS2_IJSP_SN_SM_SQ_NSI_IJLi7ELi8EEEEEEENSI_IJLi5ELi6ELi7ELi8EEEElEEEEES1Q_S13_S13_S14_NS_31BlockToCTileMap_M00_N0_M01AdaptILi128ELi64ESZ_iEELb0EEEvPKT0_PKT1_T2_PT3_T4_T5_T6_T7_T8_T9_T10_T11_
    .private_segment_fixed_size: 0
    .sgpr_count:     4
    .sgpr_spill_count: 0
    .symbol:         _ZN2ck36kernel_gemm_mupltipe_d_wmma_cshuffleINS_26GridwiseGemmMultipleD_WmmaIaaiiNS_5TupleIJaEEEaNS_16TensorDescriptorINS2_IJNS_5EmbedINS2_IJiiEEENS2_IJiNS_17integral_constantIiLi1EEEEEELb0EEENS_11PassThroughIiEESC_NS_7UnMergeINS2_IJiNS7_IiLi8EEEEEELb0EEESC_EEENS2_IJNS_8SequenceIJLi0EEEENSI_IJLi1EEEENSI_IJLi2EEEENSI_IJLi4EEEENSI_IJLi3EEEEEEENS2_IJNSI_IJLi1ELi2EEEESN_SM_NSI_IJLi5ELi6EEEENSI_IJLi7EEEEEEENSI_IJLi5ELi7ELi6EEEElEESU_NS2_IJNS4_INS2_IJSA_SC_SC_EEENS2_IJSJ_SK_SL_EEENS2_IJSP_SN_SM_EEENSI_IJLi3ELi4EEEElEEEEESZ_NS_16tensor_operation12element_wise11PassThroughES13_12AlphaBetaAddLNS_25InMemoryDataOperationEnumE0ELi128ELi64ELi64ELi16ELi16ELi8ELi4ELi2ELi128ENSI_IJLi4ELi32ELi1EEEENSI_IJLi1ELi0ELi2EEEES17_Li2ELi8ELi8ELb0ELb1ELb1ES16_S17_S17_Li2ELi8ELi8ELb0ELb1ELb1ELi1ELi1ENSI_IJLi1ELi32ELi1ELi4EEEELi8ELi2ELNS_13LoopSchedulerE0ELNS_15PipelineVersionE0EEEaaNS2_IJPKaEEEaSU_SU_NS2_IJNS4_INS2_IJSA_SC_SC_NSD_INS2_IJiNS7_IiLi128EEEEEELb0EEENSD_INS2_IJiNS7_IiLi64EEEEEELb0EEEEEENS2_IJSJ_SK_SL_SN_SM_EEENS2_IJSP_SN_SM_SQ_NSI_IJLi7ELi8EEEEEEENSI_IJLi5ELi6ELi7ELi8EEEElEEEEES1Q_S13_S13_S14_NS_31BlockToCTileMap_M00_N0_M01AdaptILi128ELi64ESZ_iEELb0EEEvPKT0_PKT1_T2_PT3_T4_T5_T6_T7_T8_T9_T10_T11_.kd
    .uniform_work_group_size: 1
    .uses_dynamic_stack: false
    .vgpr_count:     0
    .vgpr_spill_count: 0
    .wavefront_size: 64
amdhsa.target:   amdgcn-amd-amdhsa--gfx906
amdhsa.version:
  - 1
  - 2
...

	.end_amdgpu_metadata
